;; amdgpu-corpus repo=ROCm/rocFFT kind=compiled arch=gfx1030 opt=O3
	.text
	.amdgcn_target "amdgcn-amd-amdhsa--gfx1030"
	.amdhsa_code_object_version 6
	.protected	fft_rtc_fwd_len1925_factors_7_11_5_5_wgs_55_tpt_55_halfLds_half_ip_CI_unitstride_sbrr_dirReg ; -- Begin function fft_rtc_fwd_len1925_factors_7_11_5_5_wgs_55_tpt_55_halfLds_half_ip_CI_unitstride_sbrr_dirReg
	.globl	fft_rtc_fwd_len1925_factors_7_11_5_5_wgs_55_tpt_55_halfLds_half_ip_CI_unitstride_sbrr_dirReg
	.p2align	8
	.type	fft_rtc_fwd_len1925_factors_7_11_5_5_wgs_55_tpt_55_halfLds_half_ip_CI_unitstride_sbrr_dirReg,@function
fft_rtc_fwd_len1925_factors_7_11_5_5_wgs_55_tpt_55_halfLds_half_ip_CI_unitstride_sbrr_dirReg: ; @fft_rtc_fwd_len1925_factors_7_11_5_5_wgs_55_tpt_55_halfLds_half_ip_CI_unitstride_sbrr_dirReg
; %bb.0:
	s_clause 0x2
	s_load_dwordx4 s[8:11], s[4:5], 0x0
	s_load_dwordx2 s[2:3], s[4:5], 0x50
	s_load_dwordx2 s[12:13], s[4:5], 0x18
	v_mul_u32_u24_e32 v1, 0x4a8, v0
	v_mov_b32_e32 v3, 0
	v_add_nc_u32_sdwa v5, s6, v1 dst_sel:DWORD dst_unused:UNUSED_PAD src0_sel:DWORD src1_sel:WORD_1
	v_mov_b32_e32 v1, 0
	v_mov_b32_e32 v6, v3
	v_mov_b32_e32 v2, 0
	s_waitcnt lgkmcnt(0)
	v_cmp_lt_u64_e64 s0, s[10:11], 2
	s_and_b32 vcc_lo, exec_lo, s0
	s_cbranch_vccnz .LBB0_8
; %bb.1:
	s_load_dwordx2 s[0:1], s[4:5], 0x10
	v_mov_b32_e32 v1, 0
	s_add_u32 s6, s12, 8
	v_mov_b32_e32 v2, 0
	s_addc_u32 s7, s13, 0
	s_mov_b64 s[16:17], 1
	s_waitcnt lgkmcnt(0)
	s_add_u32 s14, s0, 8
	s_addc_u32 s15, s1, 0
.LBB0_2:                                ; =>This Inner Loop Header: Depth=1
	s_load_dwordx2 s[18:19], s[14:15], 0x0
                                        ; implicit-def: $vgpr7_vgpr8
	s_mov_b32 s0, exec_lo
	s_waitcnt lgkmcnt(0)
	v_or_b32_e32 v4, s19, v6
	v_cmpx_ne_u64_e32 0, v[3:4]
	s_xor_b32 s1, exec_lo, s0
	s_cbranch_execz .LBB0_4
; %bb.3:                                ;   in Loop: Header=BB0_2 Depth=1
	v_cvt_f32_u32_e32 v4, s18
	v_cvt_f32_u32_e32 v7, s19
	s_sub_u32 s0, 0, s18
	s_subb_u32 s20, 0, s19
	v_fmac_f32_e32 v4, 0x4f800000, v7
	v_rcp_f32_e32 v4, v4
	v_mul_f32_e32 v4, 0x5f7ffffc, v4
	v_mul_f32_e32 v7, 0x2f800000, v4
	v_trunc_f32_e32 v7, v7
	v_fmac_f32_e32 v4, 0xcf800000, v7
	v_cvt_u32_f32_e32 v7, v7
	v_cvt_u32_f32_e32 v4, v4
	v_mul_lo_u32 v8, s0, v7
	v_mul_hi_u32 v9, s0, v4
	v_mul_lo_u32 v10, s20, v4
	v_add_nc_u32_e32 v8, v9, v8
	v_mul_lo_u32 v9, s0, v4
	v_add_nc_u32_e32 v8, v8, v10
	v_mul_hi_u32 v10, v4, v9
	v_mul_lo_u32 v11, v4, v8
	v_mul_hi_u32 v12, v4, v8
	v_mul_hi_u32 v13, v7, v9
	v_mul_lo_u32 v9, v7, v9
	v_mul_hi_u32 v14, v7, v8
	v_mul_lo_u32 v8, v7, v8
	v_add_co_u32 v10, vcc_lo, v10, v11
	v_add_co_ci_u32_e32 v11, vcc_lo, 0, v12, vcc_lo
	v_add_co_u32 v9, vcc_lo, v10, v9
	v_add_co_ci_u32_e32 v9, vcc_lo, v11, v13, vcc_lo
	v_add_co_ci_u32_e32 v10, vcc_lo, 0, v14, vcc_lo
	v_add_co_u32 v8, vcc_lo, v9, v8
	v_add_co_ci_u32_e32 v9, vcc_lo, 0, v10, vcc_lo
	v_add_co_u32 v4, vcc_lo, v4, v8
	v_add_co_ci_u32_e32 v7, vcc_lo, v7, v9, vcc_lo
	v_mul_hi_u32 v8, s0, v4
	v_mul_lo_u32 v10, s20, v4
	v_mul_lo_u32 v9, s0, v7
	v_add_nc_u32_e32 v8, v8, v9
	v_mul_lo_u32 v9, s0, v4
	v_add_nc_u32_e32 v8, v8, v10
	v_mul_hi_u32 v10, v4, v9
	v_mul_lo_u32 v11, v4, v8
	v_mul_hi_u32 v12, v4, v8
	v_mul_hi_u32 v13, v7, v9
	v_mul_lo_u32 v9, v7, v9
	v_mul_hi_u32 v14, v7, v8
	v_mul_lo_u32 v8, v7, v8
	v_add_co_u32 v10, vcc_lo, v10, v11
	v_add_co_ci_u32_e32 v11, vcc_lo, 0, v12, vcc_lo
	v_add_co_u32 v9, vcc_lo, v10, v9
	v_add_co_ci_u32_e32 v9, vcc_lo, v11, v13, vcc_lo
	v_add_co_ci_u32_e32 v10, vcc_lo, 0, v14, vcc_lo
	v_add_co_u32 v8, vcc_lo, v9, v8
	v_add_co_ci_u32_e32 v9, vcc_lo, 0, v10, vcc_lo
	v_add_co_u32 v4, vcc_lo, v4, v8
	v_add_co_ci_u32_e32 v11, vcc_lo, v7, v9, vcc_lo
	v_mul_hi_u32 v13, v5, v4
	v_mad_u64_u32 v[9:10], null, v6, v4, 0
	v_mad_u64_u32 v[7:8], null, v5, v11, 0
	;; [unrolled: 1-line block ×3, first 2 shown]
	v_add_co_u32 v4, vcc_lo, v13, v7
	v_add_co_ci_u32_e32 v7, vcc_lo, 0, v8, vcc_lo
	v_add_co_u32 v4, vcc_lo, v4, v9
	v_add_co_ci_u32_e32 v4, vcc_lo, v7, v10, vcc_lo
	v_add_co_ci_u32_e32 v7, vcc_lo, 0, v12, vcc_lo
	v_add_co_u32 v4, vcc_lo, v4, v11
	v_add_co_ci_u32_e32 v9, vcc_lo, 0, v7, vcc_lo
	v_mul_lo_u32 v10, s19, v4
	v_mad_u64_u32 v[7:8], null, s18, v4, 0
	v_mul_lo_u32 v11, s18, v9
	v_sub_co_u32 v7, vcc_lo, v5, v7
	v_add3_u32 v8, v8, v11, v10
	v_sub_nc_u32_e32 v10, v6, v8
	v_subrev_co_ci_u32_e64 v10, s0, s19, v10, vcc_lo
	v_add_co_u32 v11, s0, v4, 2
	v_add_co_ci_u32_e64 v12, s0, 0, v9, s0
	v_sub_co_u32 v13, s0, v7, s18
	v_sub_co_ci_u32_e32 v8, vcc_lo, v6, v8, vcc_lo
	v_subrev_co_ci_u32_e64 v10, s0, 0, v10, s0
	v_cmp_le_u32_e32 vcc_lo, s18, v13
	v_cmp_eq_u32_e64 s0, s19, v8
	v_cndmask_b32_e64 v13, 0, -1, vcc_lo
	v_cmp_le_u32_e32 vcc_lo, s19, v10
	v_cndmask_b32_e64 v14, 0, -1, vcc_lo
	v_cmp_le_u32_e32 vcc_lo, s18, v7
	;; [unrolled: 2-line block ×3, first 2 shown]
	v_cndmask_b32_e64 v15, 0, -1, vcc_lo
	v_cmp_eq_u32_e32 vcc_lo, s19, v10
	v_cndmask_b32_e64 v7, v15, v7, s0
	v_cndmask_b32_e32 v10, v14, v13, vcc_lo
	v_add_co_u32 v13, vcc_lo, v4, 1
	v_add_co_ci_u32_e32 v14, vcc_lo, 0, v9, vcc_lo
	v_cmp_ne_u32_e32 vcc_lo, 0, v10
	v_cndmask_b32_e32 v8, v14, v12, vcc_lo
	v_cndmask_b32_e32 v10, v13, v11, vcc_lo
	v_cmp_ne_u32_e32 vcc_lo, 0, v7
	v_cndmask_b32_e32 v8, v9, v8, vcc_lo
	v_cndmask_b32_e32 v7, v4, v10, vcc_lo
.LBB0_4:                                ;   in Loop: Header=BB0_2 Depth=1
	s_andn2_saveexec_b32 s0, s1
	s_cbranch_execz .LBB0_6
; %bb.5:                                ;   in Loop: Header=BB0_2 Depth=1
	v_cvt_f32_u32_e32 v4, s18
	s_sub_i32 s1, 0, s18
	v_rcp_iflag_f32_e32 v4, v4
	v_mul_f32_e32 v4, 0x4f7ffffe, v4
	v_cvt_u32_f32_e32 v4, v4
	v_mul_lo_u32 v7, s1, v4
	v_mul_hi_u32 v7, v4, v7
	v_add_nc_u32_e32 v4, v4, v7
	v_mul_hi_u32 v4, v5, v4
	v_mul_lo_u32 v7, v4, s18
	v_add_nc_u32_e32 v8, 1, v4
	v_sub_nc_u32_e32 v7, v5, v7
	v_subrev_nc_u32_e32 v9, s18, v7
	v_cmp_le_u32_e32 vcc_lo, s18, v7
	v_cndmask_b32_e32 v7, v7, v9, vcc_lo
	v_cndmask_b32_e32 v4, v4, v8, vcc_lo
	v_cmp_le_u32_e32 vcc_lo, s18, v7
	v_add_nc_u32_e32 v8, 1, v4
	v_cndmask_b32_e32 v7, v4, v8, vcc_lo
	v_mov_b32_e32 v8, v3
.LBB0_6:                                ;   in Loop: Header=BB0_2 Depth=1
	s_or_b32 exec_lo, exec_lo, s0
	s_load_dwordx2 s[0:1], s[6:7], 0x0
	v_mul_lo_u32 v4, v8, s18
	v_mul_lo_u32 v11, v7, s19
	v_mad_u64_u32 v[9:10], null, v7, s18, 0
	s_add_u32 s16, s16, 1
	s_addc_u32 s17, s17, 0
	s_add_u32 s6, s6, 8
	s_addc_u32 s7, s7, 0
	;; [unrolled: 2-line block ×3, first 2 shown]
	v_add3_u32 v4, v10, v11, v4
	v_sub_co_u32 v5, vcc_lo, v5, v9
	v_sub_co_ci_u32_e32 v4, vcc_lo, v6, v4, vcc_lo
	s_waitcnt lgkmcnt(0)
	v_mul_lo_u32 v6, s1, v5
	v_mul_lo_u32 v4, s0, v4
	v_mad_u64_u32 v[1:2], null, s0, v5, v[1:2]
	v_cmp_ge_u64_e64 s0, s[16:17], s[10:11]
	s_and_b32 vcc_lo, exec_lo, s0
	v_add3_u32 v2, v6, v2, v4
	s_cbranch_vccnz .LBB0_9
; %bb.7:                                ;   in Loop: Header=BB0_2 Depth=1
	v_mov_b32_e32 v5, v7
	v_mov_b32_e32 v6, v8
	s_branch .LBB0_2
.LBB0_8:
	v_mov_b32_e32 v8, v6
	v_mov_b32_e32 v7, v5
.LBB0_9:
	s_lshl_b64 s[0:1], s[10:11], 3
	v_mul_hi_u32 v6, 0x4a7904b, v0
	s_add_u32 s0, s12, s0
	s_addc_u32 s1, s13, s1
	v_mov_b32_e32 v46, 0
	s_load_dwordx2 s[0:1], s[0:1], 0x0
	s_load_dwordx2 s[4:5], s[4:5], 0x20
	v_mov_b32_e32 v17, 0
	v_mov_b32_e32 v28, 0
	;; [unrolled: 1-line block ×3, first 2 shown]
	v_mul_u32_u24_e32 v6, 55, v6
	v_mov_b32_e32 v35, 0
	v_mov_b32_e32 v5, 0
	;; [unrolled: 1-line block ×13, first 2 shown]
	v_sub_nc_u32_e32 v20, v0, v6
	s_waitcnt lgkmcnt(0)
	v_mul_lo_u32 v9, s0, v8
	v_mul_lo_u32 v13, s1, v7
	v_mad_u64_u32 v[1:2], null, s0, v7, v[1:2]
	v_cmp_gt_u64_e32 vcc_lo, s[4:5], v[7:8]
	v_mov_b32_e32 v6, 0
	v_mov_b32_e32 v41, 0
                                        ; implicit-def: $vgpr70
                                        ; implicit-def: $vgpr71
                                        ; implicit-def: $vgpr42
                                        ; implicit-def: $vgpr69
                                        ; implicit-def: $vgpr67
                                        ; implicit-def: $vgpr55
                                        ; implicit-def: $vgpr68
                                        ; implicit-def: $vgpr59
                                        ; implicit-def: $vgpr73
                                        ; implicit-def: $vgpr64
                                        ; implicit-def: $vgpr72
                                        ; implicit-def: $vgpr74
                                        ; implicit-def: $vgpr57
                                        ; implicit-def: $vgpr61
                                        ; implicit-def: $vgpr36
                                        ; implicit-def: $vgpr37
                                        ; implicit-def: $vgpr0
	v_add3_u32 v2, v13, v2, v9
	v_mov_b32_e32 v9, 0
                                        ; implicit-def: $vgpr13
	v_lshlrev_b64 v[22:23], 2, v[1:2]
                                        ; implicit-def: $vgpr2
                                        ; implicit-def: $vgpr1
	s_and_saveexec_b32 s1, vcc_lo
	s_cbranch_execz .LBB0_11
; %bb.10:
	v_mov_b32_e32 v21, 0
	v_add_co_u32 v2, s0, s2, v22
	v_add_co_ci_u32_e64 v3, s0, s3, v23, s0
	v_lshlrev_b64 v[0:1], 2, v[20:21]
	v_add_co_u32 v0, s0, v2, v0
	v_add_co_ci_u32_e64 v1, s0, v3, v1, s0
	v_add_co_u32 v6, s0, 0x800, v0
	v_add_co_ci_u32_e64 v7, s0, 0, v1, s0
	;; [unrolled: 2-line block ×3, first 2 shown]
	global_load_dword v8, v[6:7], off offset:1252
	v_add_co_u32 v15, s0, 0x1000, v0
	v_add_co_ci_u32_e64 v16, s0, 0, v1, s0
	s_clause 0x21
	global_load_dword v42, v[2:3], off offset:676
	global_load_dword v28, v[0:1], off offset:1320
	;; [unrolled: 1-line block ×4, first 2 shown]
	global_load_dword v17, v[0:1], off
	global_load_dword v12, v[0:1], off offset:220
	global_load_dword v5, v[0:1], off offset:440
	;; [unrolled: 1-line block ×29, first 2 shown]
	s_waitcnt vmcnt(21)
	v_lshrrev_b32_e32 v70, 16, v13
	s_waitcnt vmcnt(20)
	v_lshrrev_b32_e32 v71, 16, v18
	;; [unrolled: 2-line block ×5, first 2 shown]
	s_waitcnt vmcnt(15)
	v_perm_b32 v57, v18, v25, 0x5040100
	v_perm_b32 v61, v42, v25, 0x7060302
	s_waitcnt vmcnt(14)
	v_perm_b32 v36, v19, v26, 0x5040100
	v_perm_b32 v37, v59, v26, 0x7060302
	s_waitcnt vmcnt(13)
	v_perm_b32 v2, v21, v27, 0x5040100
	s_waitcnt vmcnt(8)
	;; [unrolled: 2-line block ×3, first 2 shown]
	v_perm_b32 v1, v68, v29, 0x7060302
	v_perm_b32 v72, v13, v8, 0x5040100
	;; [unrolled: 1-line block ×4, first 2 shown]
.LBB0_11:
	s_or_b32 exec_lo, exec_lo, s1
	s_waitcnt vmcnt(2)
	v_perm_b32 v75, v65, v14, 0x5040100
	v_add_f16_e32 v7, v64, v46
	v_perm_b32 v76, v46, v14, 0x7060302
	v_sub_f16_sdwa v14, v65, v70 dst_sel:DWORD dst_unused:UNUSED_PAD src0_sel:WORD_1 src1_sel:DWORD
	v_perm_b32 v77, v50, v11, 0x5040100
	v_pk_add_f16 v8, v72, v75
	v_add_f16_e32 v18, v42, v28
	v_pk_add_f16 v15, v76, v74 neg_lo:[0,1] neg_hi:[0,1]
	v_perm_b32 v78, v28, v11, 0x7060302
	v_pk_add_f16 v11, v57, v77
	v_alignbit_b32 v16, v7, v8, 16
	v_add_f16_sdwa v24, v7, v8 dst_sel:DWORD dst_unused:UNUSED_PAD src0_sel:DWORD src1_sel:WORD_1
	v_sub_f16_e32 v7, v7, v8
	v_add_f16_e32 v25, v14, v15
	v_pack_b32_f16 v26, v14, v15
	v_pk_add_f16 v16, v8, v16 neg_lo:[0,1] neg_hi:[0,1]
	v_sub_f16_sdwa v14, v14, v15 dst_sel:DWORD dst_unused:UNUSED_PAD src0_sel:DWORD src1_sel:WORD_1
	v_add_f16_e32 v8, v24, v8
	v_mul_f16_e32 v24, 0xba52, v7
	v_add_f16_sdwa v25, v15, v25 dst_sel:DWORD dst_unused:UNUSED_PAD src0_sel:WORD_1 src1_sel:DWORD
	v_pk_mul_f16 v27, 0x39e02b26, v16
	v_pk_add_f16 v15, v15, v26 neg_lo:[0,1] neg_hi:[0,1]
	v_mul_f16_e32 v14, 0x3b00, v14
	v_add_f16_e32 v26, v8, v17
	v_mul_f16_e32 v29, 0x370e, v25
	v_alignbit_b32 v24, v24, v27, 16
	v_pk_mul_f16 v30, 0x3574b846, v15
	v_pk_fma_f16 v14, 0x3574b846, v15, v14 op_sel_hi:[1,1,0] neg_lo:[0,1,0] neg_hi:[0,1,1]
	v_fmamk_f16 v8, v8, 0xbcab, v26
	v_fmamk_f16 v7, v7, 0x3a52, v27
	v_pk_fma_f16 v15, 0x39e02b26, v16, v24 neg_lo:[0,1,0] neg_hi:[0,1,0]
	v_add_f16_sdwa v24, v30, v30 dst_sel:DWORD dst_unused:UNUSED_PAD src0_sel:WORD_1 src1_sel:DWORD
	v_pk_add_f16 v14, v14, v29 op_sel_hi:[1,0]
	v_alignbit_b32 v27, v18, v11, 16
	v_add_f16_e32 v7, v7, v8
	v_pk_add_f16 v15, v15, v8 op_sel_hi:[1,0]
	v_fmac_f16_e32 v24, 0x370e, v25
	v_sub_f16_sdwa v19, v50, v71 dst_sel:DWORD dst_unused:UNUSED_PAD src0_sel:WORD_1 src1_sel:DWORD
	v_pk_add_f16 v25, v78, v61 neg_lo:[0,1] neg_hi:[0,1]
	v_sub_f16_e32 v30, v18, v11
	v_pk_add_f16 v8, v15, v14
	v_pk_add_f16 v14, v15, v14 neg_lo:[0,1] neg_hi:[0,1]
	v_add_f16_e32 v29, v7, v24
	v_add_f16_sdwa v18, v18, v11 dst_sel:DWORD dst_unused:UNUSED_PAD src0_sel:DWORD src1_sel:WORD_1
	v_pack_b32_f16 v31, v19, v25
	v_perm_b32 v79, v52, v10, 0x5040100
	v_bfi_b32 v16, 0xffff, v8, v14
	v_alignbit_b32 v15, v14, v8, 16
	v_pk_add_f16 v8, v11, v27 neg_lo:[0,1] neg_hi:[0,1]
	v_pack_b32_f16 v14, v26, v29
	v_add_f16_e32 v26, v19, v25
	v_mul_f16_e32 v27, 0xba52, v30
	v_add_f16_e32 v11, v18, v11
	v_pk_mul_f16 v29, 0x39e02b26, v8
	v_sub_f16_sdwa v18, v19, v25 dst_sel:DWORD dst_unused:UNUSED_PAD src0_sel:DWORD src1_sel:WORD_1
	v_add_f16_sdwa v19, v25, v26 dst_sel:DWORD dst_unused:UNUSED_PAD src0_sel:WORD_1 src1_sel:DWORD
	v_pk_add_f16 v25, v25, v31 neg_lo:[0,1] neg_hi:[0,1]
	v_add_f16_e32 v21, v59, v35
	v_alignbit_b32 v26, v27, v29, 16
	v_add_f16_e32 v27, v11, v12
	v_mul_f16_e32 v18, 0x3b00, v18
	v_mul_f16_e32 v31, 0x370e, v19
	v_fmamk_f16 v29, v30, 0x3a52, v29
	v_pk_fma_f16 v8, 0x39e02b26, v8, v26 neg_lo:[0,1,0] neg_hi:[0,1,0]
	v_pk_mul_f16 v26, 0x3574b846, v25
	v_fmamk_f16 v11, v11, 0xbcab, v27
	v_pk_fma_f16 v18, 0x3574b846, v25, v18 op_sel_hi:[1,1,0] neg_lo:[0,1,0] neg_hi:[0,1,1]
	v_mad_u32_u24 v63, v20, 14, 0
	v_pk_add_f16 v30, v36, v79
	v_add_f16_sdwa v26, v26, v26 dst_sel:DWORD dst_unused:UNUSED_PAD src0_sel:WORD_1 src1_sel:DWORD
	v_perm_b32 v80, v35, v10, 0x7060302
	v_sub_f16_sdwa v25, v52, v73 dst_sel:DWORD dst_unused:UNUSED_PAD src0_sel:WORD_1 src1_sel:DWORD
	v_pk_add_f16 v8, v8, v11 op_sel_hi:[1,0]
	v_pk_add_f16 v18, v18, v31 op_sel_hi:[1,0]
	v_fmac_f16_e32 v26, 0x370e, v19
	v_alignbit_b32 v19, v21, v30, 16
	ds_write_b96 v63, v[14:16]
	v_pk_add_f16 v14, v80, v37 neg_lo:[0,1] neg_hi:[0,1]
	v_pk_add_f16 v10, v8, v18
	v_pk_add_f16 v8, v8, v18 neg_lo:[0,1] neg_hi:[0,1]
	v_sub_f16_e32 v18, v21, v30
	v_pk_add_f16 v15, v30, v19 neg_lo:[0,1] neg_hi:[0,1]
	v_add_f16_sdwa v16, v21, v30 dst_sel:DWORD dst_unused:UNUSED_PAD src0_sel:DWORD src1_sel:WORD_1
	v_pack_b32_f16 v21, v25, v14
	v_add_f16_e32 v32, v25, v14
	v_sub_f16_sdwa v25, v25, v14 dst_sel:DWORD dst_unused:UNUSED_PAD src0_sel:DWORD src1_sel:WORD_1
	v_add_f16_e32 v11, v29, v11
	v_mul_f16_e32 v29, 0xba52, v18
	v_pk_mul_f16 v31, 0x39e02b26, v15
	v_add_f16_e32 v30, v16, v30
	v_pk_add_f16 v21, v14, v21 neg_lo:[0,1] neg_hi:[0,1]
	v_add_f16_sdwa v32, v14, v32 dst_sel:DWORD dst_unused:UNUSED_PAD src0_sel:WORD_1 src1_sel:DWORD
	v_mul_f16_e32 v14, 0x3b00, v25
	v_add_f16_e32 v19, v11, v26
	v_alignbit_b32 v29, v29, v31, 16
	v_add_f16_e32 v25, v30, v5
	v_mul_f16_e32 v33, 0x370e, v32
	v_pk_fma_f16 v14, 0x3574b846, v21, v14 op_sel_hi:[1,1,0] neg_lo:[0,1,0] neg_hi:[0,1,1]
	v_pk_mul_f16 v21, 0x3574b846, v21
	v_bfi_b32 v16, 0xffff, v10, v8
	v_pk_fma_f16 v29, 0x39e02b26, v15, v29 neg_lo:[0,1,0] neg_hi:[0,1,0]
	v_fmamk_f16 v30, v30, 0xbcab, v25
	v_alignbit_b32 v15, v8, v10, 16
	v_fmamk_f16 v8, v18, 0x3a52, v31
	v_pk_add_f16 v10, v14, v33 op_sel_hi:[1,0]
	v_add_f16_sdwa v18, v21, v21 dst_sel:DWORD dst_unused:UNUSED_PAD src0_sel:WORD_1 src1_sel:DWORD
	v_pack_b32_f16 v14, v27, v19
	v_perm_b32 v81, v47, v9, 0x5040100
	v_pk_add_f16 v21, v29, v30 op_sel_hi:[1,0]
	v_add_f16_e32 v19, v8, v30
	v_add_f16_e32 v27, v67, v38
	v_fmac_f16_e32 v18, 0x370e, v32
	v_sub_f16_e32 v7, v7, v24
	ds_write_b96 v63, v[14:16] offset:770
	v_pk_add_f16 v15, v2, v81
	v_pk_add_f16 v8, v21, v10
	v_pk_add_f16 v21, v21, v10 neg_lo:[0,1] neg_hi:[0,1]
	v_add_f16_e32 v14, v19, v18
	v_perm_b32 v82, v38, v9, 0x7060302
	ds_write_b16 v63, v7 offset:12
	v_alignbit_b32 v7, v27, v15, 16
	v_bfi_b32 v10, 0xffff, v8, v21
	v_alignbit_b32 v9, v21, v8, 16
	v_sub_f16_sdwa v16, v47, v69 dst_sel:DWORD dst_unused:UNUSED_PAD src0_sel:WORD_1 src1_sel:DWORD
	v_pk_add_f16 v21, v82, v13 neg_lo:[0,1] neg_hi:[0,1]
	v_pack_b32_f16 v8, v25, v14
	v_add_f16_sdwa v14, v27, v15 dst_sel:DWORD dst_unused:UNUSED_PAD src0_sel:DWORD src1_sel:WORD_1
	v_sub_f16_e32 v24, v27, v15
	v_pk_add_f16 v7, v15, v7 neg_lo:[0,1] neg_hi:[0,1]
	v_pack_b32_f16 v25, v16, v21
	v_add_f16_e32 v27, v16, v21
	v_sub_f16_sdwa v16, v16, v21 dst_sel:DWORD dst_unused:UNUSED_PAD src0_sel:DWORD src1_sel:WORD_1
	v_mul_f16_e32 v29, 0xba52, v24
	v_pk_mul_f16 v30, 0x39e02b26, v7
	v_add_f16_e32 v14, v14, v15
	v_pk_add_f16 v15, v21, v25 neg_lo:[0,1] neg_hi:[0,1]
	v_add_f16_sdwa v21, v21, v27 dst_sel:DWORD dst_unused:UNUSED_PAD src0_sel:WORD_1 src1_sel:DWORD
	v_mul_f16_e32 v16, 0x3b00, v16
	v_alignbit_b32 v25, v29, v30, 16
	v_add_f16_e32 v27, v14, v4
	v_sub_f16_e32 v11, v11, v26
	v_mul_f16_e32 v26, 0x370e, v21
	v_pk_fma_f16 v16, 0x3574b846, v15, v16 op_sel_hi:[1,1,0] neg_lo:[0,1,0] neg_hi:[0,1,1]
	v_pk_fma_f16 v7, 0x39e02b26, v7, v25 neg_lo:[0,1,0] neg_hi:[0,1,0]
	v_fmamk_f16 v14, v14, 0xbcab, v27
	v_pk_mul_f16 v15, 0x3574b846, v15
	v_fmamk_f16 v24, v24, 0x3a52, v30
	s_waitcnt vmcnt(0)
	v_perm_b32 v84, v41, v6, 0x5040100
	v_pk_add_f16 v16, v16, v26 op_sel_hi:[1,0]
	v_pk_add_f16 v7, v7, v14 op_sel_hi:[1,0]
	v_add_f16_sdwa v15, v15, v15 dst_sel:DWORD dst_unused:UNUSED_PAD src0_sel:WORD_1 src1_sel:DWORD
	v_add_f16_e32 v14, v24, v14
	v_add_f16_e32 v24, v68, v54
	v_pk_add_f16 v25, v0, v84
	v_perm_b32 v85, v54, v6, 0x7060302
	v_pk_add_f16 v26, v7, v16
	v_pk_add_f16 v6, v7, v16 neg_lo:[0,1] neg_hi:[0,1]
	v_fmac_f16_e32 v15, 0x370e, v21
	v_alignbit_b32 v7, v24, v25, 16
	v_sub_f16_sdwa v16, v41, v55 dst_sel:DWORD dst_unused:UNUSED_PAD src0_sel:WORD_1 src1_sel:DWORD
	v_pk_add_f16 v21, v85, v1 neg_lo:[0,1] neg_hi:[0,1]
	ds_write_b96 v63, v[8:10] offset:1540
	v_sub_f16_e32 v8, v24, v25
	v_pk_add_f16 v7, v25, v7 neg_lo:[0,1] neg_hi:[0,1]
	v_add_f16_sdwa v9, v24, v25 dst_sel:DWORD dst_unused:UNUSED_PAD src0_sel:DWORD src1_sel:WORD_1
	v_pack_b32_f16 v10, v16, v21
	v_add_f16_e32 v24, v16, v21
	v_mul_f16_e32 v29, 0xba52, v8
	v_pk_mul_f16 v30, 0x39e02b26, v7
	v_add_f16_e32 v9, v9, v25
	v_sub_f16_sdwa v16, v16, v21 dst_sel:DWORD dst_unused:UNUSED_PAD src0_sel:DWORD src1_sel:WORD_1
	v_pk_add_f16 v10, v21, v10 neg_lo:[0,1] neg_hi:[0,1]
	v_add_f16_sdwa v21, v21, v24 dst_sel:DWORD dst_unused:UNUSED_PAD src0_sel:WORD_1 src1_sel:DWORD
	v_alignbit_b32 v24, v29, v30, 16
	v_add_f16_e32 v25, v9, v3
	v_mul_f16_e32 v16, 0x3b00, v16
	v_pk_mul_f16 v29, 0x3574b846, v10
	v_fmamk_f16 v8, v8, 0x3a52, v30
	v_pk_fma_f16 v7, 0x39e02b26, v7, v24 neg_lo:[0,1,0] neg_hi:[0,1,0]
	v_fmamk_f16 v9, v9, 0xbcab, v25
	v_pk_fma_f16 v10, 0x3574b846, v10, v16 op_sel_hi:[1,1,0] neg_lo:[0,1,0] neg_hi:[0,1,1]
	v_mul_f16_e32 v16, 0x370e, v21
	v_add_f16_sdwa v24, v29, v29 dst_sel:DWORD dst_unused:UNUSED_PAD src0_sel:WORD_1 src1_sel:DWORD
	v_add_f16_e32 v29, v14, v15
	v_add_f16_e32 v30, v8, v9
	v_pk_add_f16 v9, v7, v9 op_sel_hi:[1,0]
	v_pk_add_f16 v10, v10, v16 op_sel_hi:[1,0]
	v_fmac_f16_e32 v24, 0x370e, v21
	v_bfi_b32 v8, 0xffff, v26, v6
	v_alignbit_b32 v7, v6, v26, 16
	v_pack_b32_f16 v6, v27, v29
	v_pk_add_f16 v21, v9, v10
	v_add_f16_e32 v16, v30, v24
	v_pk_add_f16 v83, v9, v10 neg_lo:[0,1] neg_hi:[0,1]
	ds_write_b16 v63, v11 offset:782
	v_sub_f16_e32 v9, v19, v18
	v_sub_f16_e32 v11, v14, v15
	v_pack_b32_f16 v14, v25, v16
	v_bfi_b32 v16, 0xffff, v21, v83
	v_alignbit_b32 v15, v83, v21, 16
	v_sub_f16_e32 v10, v30, v24
	v_lshl_add_u32 v21, v20, 1, 0
	ds_write_b16 v63, v9 offset:1552
	ds_write_b96 v63, v[6:8] offset:2310
	ds_write_b16 v63, v11 offset:2322
	ds_write_b96 v63, v[14:16] offset:3080
	v_cmp_gt_u32_e64 s0, 10, v20
	ds_write_b16 v63, v10 offset:3092
	s_waitcnt lgkmcnt(0)
	s_barrier
	buffer_gl0_inv
	ds_read_u16 v43, v21
	ds_read_u16 v40, v21 offset:110
	ds_read_u16 v11, v21 offset:1860
	;; [unrolled: 1-line block ×32, first 2 shown]
	v_lshrrev_b32_e32 v16, 16, v83
                                        ; implicit-def: $vgpr83
                                        ; implicit-def: $vgpr89
                                        ; implicit-def: $vgpr107
                                        ; implicit-def: $vgpr108
                                        ; implicit-def: $vgpr105
                                        ; implicit-def: $vgpr106
                                        ; implicit-def: $vgpr109
                                        ; implicit-def: $vgpr110
                                        ; implicit-def: $vgpr111
	s_and_saveexec_b32 s1, s0
	s_cbranch_execz .LBB0_13
; %bb.12:
	ds_read_u16 v16, v21 offset:330
	ds_read_u16 v10, v21 offset:680
	;; [unrolled: 1-line block ×11, first 2 shown]
.LBB0_13:
	s_or_b32 exec_lo, exec_lo, s1
	v_sub_f16_e32 v46, v46, v64
	v_add_f16_sdwa v64, v70, v65 dst_sel:DWORD dst_unused:UNUSED_PAD src0_sel:DWORD src1_sel:WORD_1
	v_sub_f16_e32 v28, v28, v42
	v_add_f16_sdwa v42, v71, v50 dst_sel:DWORD dst_unused:UNUSED_PAD src0_sel:DWORD src1_sel:WORD_1
	v_add_f16_sdwa v50, v73, v52 dst_sel:DWORD dst_unused:UNUSED_PAD src0_sel:DWORD src1_sel:WORD_1
	v_pk_add_f16 v52, v74, v76
	v_sub_f16_e32 v35, v35, v59
	v_pk_add_f16 v59, v75, v72 neg_lo:[0,1] neg_hi:[0,1]
	v_sub_f16_e32 v38, v38, v67
	v_add_f16_sdwa v47, v69, v47 dst_sel:DWORD dst_unused:UNUSED_PAD src0_sel:DWORD src1_sel:WORD_1
	v_add_f16_sdwa v65, v52, v64 dst_sel:DWORD dst_unused:UNUSED_PAD src0_sel:WORD_1 src1_sel:DWORD
	v_sub_f16_e32 v54, v54, v68
	v_sub_f16_sdwa v67, v64, v52 dst_sel:DWORD dst_unused:UNUSED_PAD src0_sel:DWORD src1_sel:WORD_1
	v_sub_f16_sdwa v68, v52, v52 dst_sel:DWORD dst_unused:UNUSED_PAD src0_sel:WORD_1 src1_sel:DWORD
	v_sub_f16_e32 v64, v52, v64
	v_add_f16_sdwa v69, v59, v59 dst_sel:DWORD dst_unused:UNUSED_PAD src0_sel:WORD_1 src1_sel:DWORD
	v_add_f16_e32 v52, v65, v52
	v_sub_f16_sdwa v65, v59, v59 dst_sel:DWORD dst_unused:UNUSED_PAD src0_sel:DWORD src1_sel:WORD_1
	v_sub_f16_e32 v70, v46, v59
	v_sub_f16_sdwa v59, v59, v46 dst_sel:DWORD dst_unused:UNUSED_PAD src0_sel:WORD_1 src1_sel:DWORD
	v_add_f16_e32 v46, v46, v69
	v_add_f16_sdwa v17, v52, v17 dst_sel:DWORD dst_unused:UNUSED_PAD src0_sel:DWORD src1_sel:WORD_1
	v_mul_f16_e32 v64, 0x2b26, v64
	v_mul_f16_e32 v69, 0x3a52, v68
	;; [unrolled: 1-line block ×4, first 2 shown]
	v_fmamk_f16 v52, v52, 0xbcab, v17
	v_fmamk_f16 v68, v68, 0x3a52, v64
	v_fma_f16 v64, v67, 0x39e0, -v64
	v_fma_f16 v67, v67, 0xb9e0, -v69
	v_fmamk_f16 v69, v70, 0x3574, v65
	v_fma_f16 v70, v70, 0xb574, -v71
	v_fma_f16 v59, v59, 0x3b00, -v65
	v_add_f16_e32 v65, v68, v52
	v_add_f16_e32 v67, v67, v52
	;; [unrolled: 1-line block ×3, first 2 shown]
	v_fmac_f16_e32 v70, 0x370e, v46
	v_fmac_f16_e32 v59, 0x370e, v46
	v_pk_add_f16 v61, v61, v78
	v_add_f16_sdwa v41, v55, v41 dst_sel:DWORD dst_unused:UNUSED_PAD src0_sel:DWORD src1_sel:WORD_1
	v_pk_add_f16 v57, v77, v57 neg_lo:[0,1] neg_hi:[0,1]
	v_sub_f16_e32 v55, v67, v70
	v_add_f16_e32 v64, v59, v52
	v_sub_f16_e32 v52, v52, v59
	v_add_f16_e32 v59, v70, v67
	v_add_f16_sdwa v67, v61, v42 dst_sel:DWORD dst_unused:UNUSED_PAD src0_sel:WORD_1 src1_sel:DWORD
	v_sub_f16_sdwa v68, v42, v61 dst_sel:DWORD dst_unused:UNUSED_PAD src0_sel:DWORD src1_sel:WORD_1
	v_sub_f16_sdwa v70, v61, v61 dst_sel:DWORD dst_unused:UNUSED_PAD src0_sel:WORD_1 src1_sel:DWORD
	v_sub_f16_e32 v42, v61, v42
	v_add_f16_sdwa v71, v57, v57 dst_sel:DWORD dst_unused:UNUSED_PAD src0_sel:WORD_1 src1_sel:DWORD
	v_add_f16_e32 v61, v67, v61
	v_sub_f16_sdwa v67, v57, v57 dst_sel:DWORD dst_unused:UNUSED_PAD src0_sel:DWORD src1_sel:WORD_1
	v_sub_f16_e32 v72, v28, v57
	v_sub_f16_sdwa v57, v57, v28 dst_sel:DWORD dst_unused:UNUSED_PAD src0_sel:WORD_1 src1_sel:DWORD
	v_add_f16_e32 v28, v28, v71
	v_add_f16_sdwa v12, v61, v12 dst_sel:DWORD dst_unused:UNUSED_PAD src0_sel:DWORD src1_sel:WORD_1
	v_mul_f16_e32 v42, 0x2b26, v42
	v_mul_f16_e32 v71, 0x3a52, v70
	;; [unrolled: 1-line block ×4, first 2 shown]
	v_fmamk_f16 v61, v61, 0xbcab, v12
	v_fmamk_f16 v70, v70, 0x3a52, v42
	v_fma_f16 v42, v68, 0x39e0, -v42
	v_fma_f16 v68, v68, 0xb9e0, -v71
	v_fmamk_f16 v71, v72, 0x3574, v67
	v_fma_f16 v72, v72, 0xb574, -v73
	v_fma_f16 v57, v57, 0x3b00, -v67
	v_fmac_f16_e32 v69, 0x370e, v46
	v_add_f16_e32 v68, v68, v61
	v_add_f16_e32 v42, v42, v61
	v_fmac_f16_e32 v72, 0x370e, v28
	v_fmac_f16_e32 v57, 0x370e, v28
	v_pk_add_f16 v37, v37, v80
	v_sub_f16_e32 v46, v65, v69
	v_fmac_f16_e32 v71, 0x370e, v28
	v_add_f16_e32 v28, v69, v65
	v_sub_f16_e32 v65, v68, v72
	v_add_f16_e32 v69, v57, v42
	v_sub_f16_e32 v42, v42, v57
	v_add_f16_e32 v57, v72, v68
	v_pk_add_f16 v36, v79, v36 neg_lo:[0,1] neg_hi:[0,1]
	v_add_f16_sdwa v68, v37, v50 dst_sel:DWORD dst_unused:UNUSED_PAD src0_sel:WORD_1 src1_sel:DWORD
	v_add_f16_e32 v67, v70, v61
	v_sub_f16_sdwa v70, v50, v37 dst_sel:DWORD dst_unused:UNUSED_PAD src0_sel:DWORD src1_sel:WORD_1
	v_sub_f16_sdwa v72, v37, v37 dst_sel:DWORD dst_unused:UNUSED_PAD src0_sel:WORD_1 src1_sel:DWORD
	v_sub_f16_e32 v50, v37, v50
	v_add_f16_sdwa v73, v36, v36 dst_sel:DWORD dst_unused:UNUSED_PAD src0_sel:WORD_1 src1_sel:DWORD
	v_add_f16_e32 v37, v68, v37
	v_sub_f16_sdwa v68, v36, v36 dst_sel:DWORD dst_unused:UNUSED_PAD src0_sel:DWORD src1_sel:WORD_1
	v_sub_f16_e32 v74, v35, v36
	v_sub_f16_sdwa v36, v36, v35 dst_sel:DWORD dst_unused:UNUSED_PAD src0_sel:WORD_1 src1_sel:DWORD
	v_add_f16_e32 v35, v35, v73
	v_add_f16_sdwa v5, v37, v5 dst_sel:DWORD dst_unused:UNUSED_PAD src0_sel:DWORD src1_sel:WORD_1
	v_mul_f16_e32 v50, 0x2b26, v50
	v_mul_f16_e32 v73, 0x3a52, v72
	;; [unrolled: 1-line block ×4, first 2 shown]
	v_fmamk_f16 v37, v37, 0xbcab, v5
	v_fmamk_f16 v72, v72, 0x3a52, v50
	v_fma_f16 v50, v70, 0x39e0, -v50
	v_fma_f16 v70, v70, 0xb9e0, -v73
	v_fmamk_f16 v73, v74, 0x3574, v68
	v_fma_f16 v74, v74, 0xb574, -v75
	v_fma_f16 v36, v36, 0x3b00, -v68
	v_pk_add_f16 v13, v13, v82
	v_add_f16_e32 v68, v72, v37
	v_add_f16_e32 v70, v70, v37
	v_fmac_f16_e32 v73, 0x370e, v35
	v_fmac_f16_e32 v74, 0x370e, v35
	v_add_f16_e32 v37, v50, v37
	v_fmac_f16_e32 v36, 0x370e, v35
	v_pk_add_f16 v2, v81, v2 neg_lo:[0,1] neg_hi:[0,1]
	v_add_f16_sdwa v35, v13, v47 dst_sel:DWORD dst_unused:UNUSED_PAD src0_sel:WORD_1 src1_sel:DWORD
	v_sub_f16_e32 v61, v67, v71
	v_add_f16_e32 v50, v71, v67
	v_add_f16_e32 v72, v36, v37
	v_sub_f16_e32 v75, v37, v36
	v_sub_f16_sdwa v36, v47, v13 dst_sel:DWORD dst_unused:UNUSED_PAD src0_sel:DWORD src1_sel:WORD_1
	v_sub_f16_sdwa v37, v13, v13 dst_sel:DWORD dst_unused:UNUSED_PAD src0_sel:WORD_1 src1_sel:DWORD
	v_sub_f16_e32 v47, v13, v47
	v_add_f16_e32 v13, v35, v13
	v_sub_f16_sdwa v35, v2, v2 dst_sel:DWORD dst_unused:UNUSED_PAD src0_sel:DWORD src1_sel:WORD_1
	v_sub_f16_e32 v71, v70, v74
	v_add_f16_e32 v70, v74, v70
	v_add_f16_sdwa v74, v2, v2 dst_sel:DWORD dst_unused:UNUSED_PAD src0_sel:WORD_1 src1_sel:DWORD
	v_sub_f16_e32 v76, v38, v2
	v_sub_f16_sdwa v2, v2, v38 dst_sel:DWORD dst_unused:UNUSED_PAD src0_sel:WORD_1 src1_sel:DWORD
	v_add_f16_sdwa v4, v13, v4 dst_sel:DWORD dst_unused:UNUSED_PAD src0_sel:DWORD src1_sel:WORD_1
	v_mul_f16_e32 v47, 0x2b26, v47
	v_mul_f16_e32 v35, 0xb846, v35
	v_add_f16_e32 v38, v38, v74
	v_mul_f16_e32 v74, 0x3a52, v37
	v_mul_f16_e32 v77, 0x3b00, v2
	v_fmamk_f16 v13, v13, 0xbcab, v4
	v_fmamk_f16 v37, v37, 0x3a52, v47
	v_fma_f16 v47, v36, 0x39e0, -v47
	v_fma_f16 v2, v2, 0x3b00, -v35
	v_pk_add_f16 v1, v1, v85
	v_fma_f16 v36, v36, 0xb9e0, -v74
	v_fmamk_f16 v74, v76, 0x3574, v35
	v_add_f16_e32 v47, v47, v13
	v_fmac_f16_e32 v2, 0x370e, v38
	v_fma_f16 v35, v76, 0xb574, -v77
	v_pk_add_f16 v0, v84, v0 neg_lo:[0,1] neg_hi:[0,1]
	v_add_f16_e32 v37, v37, v13
	v_add_f16_e32 v13, v36, v13
	;; [unrolled: 1-line block ×3, first 2 shown]
	v_sub_f16_e32 v47, v47, v2
	v_add_f16_sdwa v2, v1, v41 dst_sel:DWORD dst_unused:UNUSED_PAD src0_sel:WORD_1 src1_sel:DWORD
	v_sub_f16_sdwa v36, v41, v1 dst_sel:DWORD dst_unused:UNUSED_PAD src0_sel:DWORD src1_sel:WORD_1
	v_sub_f16_sdwa v77, v1, v1 dst_sel:DWORD dst_unused:UNUSED_PAD src0_sel:WORD_1 src1_sel:DWORD
	v_sub_f16_e32 v41, v1, v41
	v_add_f16_sdwa v78, v0, v0 dst_sel:DWORD dst_unused:UNUSED_PAD src0_sel:WORD_1 src1_sel:DWORD
	v_add_f16_e32 v1, v2, v1
	v_sub_f16_sdwa v2, v0, v0 dst_sel:DWORD dst_unused:UNUSED_PAD src0_sel:DWORD src1_sel:WORD_1
	v_sub_f16_e32 v79, v54, v0
	v_sub_f16_sdwa v0, v0, v54 dst_sel:DWORD dst_unused:UNUSED_PAD src0_sel:WORD_1 src1_sel:DWORD
	v_add_f16_e32 v54, v54, v78
	v_add_f16_sdwa v78, v1, v3 dst_sel:DWORD dst_unused:UNUSED_PAD src0_sel:DWORD src1_sel:WORD_1
	v_mul_f16_e32 v3, 0x2b26, v41
	v_mul_f16_e32 v41, 0x3a52, v77
	;; [unrolled: 1-line block ×4, first 2 shown]
	v_fmamk_f16 v1, v1, 0xbcab, v78
	v_fmamk_f16 v77, v77, 0x3a52, v3
	v_fma_f16 v3, v36, 0x39e0, -v3
	v_fma_f16 v36, v36, 0xb9e0, -v41
	v_fmamk_f16 v41, v79, 0x3574, v2
	v_fma_f16 v0, v0, 0x3b00, -v2
	v_fma_f16 v2, v79, 0xb574, -v80
	v_add_f16_e32 v77, v77, v1
	v_add_f16_e32 v3, v3, v1
	;; [unrolled: 1-line block ×3, first 2 shown]
	v_fmac_f16_e32 v0, 0x370e, v54
	v_fmac_f16_e32 v2, 0x370e, v54
	v_fmac_f16_e32 v74, 0x370e, v38
	v_fmac_f16_e32 v35, 0x370e, v38
	v_fmac_f16_e32 v41, 0x370e, v54
	v_sub_f16_e32 v67, v68, v73
	v_sub_f16_e32 v79, v1, v2
	v_add_f16_e32 v80, v0, v3
	v_sub_f16_e32 v81, v3, v0
	v_add_f16_e32 v0, v2, v1
	v_pack_b32_f16 v3, v52, v59
	v_pack_b32_f16 v2, v55, v64
	;; [unrolled: 1-line block ×3, first 2 shown]
	v_add_f16_e32 v38, v73, v68
	v_sub_f16_e32 v68, v37, v74
	v_sub_f16_e32 v73, v13, v35
	v_add_f16_e32 v13, v35, v13
	v_add_f16_e32 v54, v74, v37
	v_pack_b32_f16 v37, v42, v57
	v_pack_b32_f16 v36, v65, v69
	;; [unrolled: 1-line block ×3, first 2 shown]
	v_sub_f16_e32 v74, v77, v41
	s_waitcnt lgkmcnt(0)
	s_barrier
	buffer_gl0_inv
	ds_write_b96 v63, v[1:3]
	ds_write_b16 v63, v28 offset:12
	ds_write_b96 v63, v[35:37] offset:770
	ds_write_b16 v63, v50 offset:782
	v_pack_b32_f16 v3, v75, v70
	v_pack_b32_f16 v2, v71, v72
	;; [unrolled: 1-line block ×9, first 2 shown]
	v_add_f16_e32 v112, v41, v77
	ds_write_b96 v63, v[1:3] offset:1540
	ds_write_b16 v63, v38 offset:1552
	ds_write_b96 v63, v[35:37] offset:2310
	ds_write_b16 v63, v54 offset:2322
	;; [unrolled: 2-line block ×3, first 2 shown]
	s_waitcnt lgkmcnt(0)
	s_barrier
	buffer_gl0_inv
	ds_read_u16 v37, v21
	ds_read_u16 v17, v21 offset:110
	ds_read_u16 v76, v21 offset:460
	;; [unrolled: 1-line block ×32, first 2 shown]
                                        ; implicit-def: $vgpr128
                                        ; implicit-def: $vgpr129
                                        ; implicit-def: $vgpr130
                                        ; implicit-def: $vgpr131
                                        ; implicit-def: $vgpr118
                                        ; implicit-def: $vgpr122
                                        ; implicit-def: $vgpr132
                                        ; implicit-def: $vgpr133
                                        ; implicit-def: $vgpr135
	s_and_saveexec_b32 s1, s0
	s_cbranch_execz .LBB0_15
; %bb.14:
	ds_read_u16 v0, v21 offset:330
	ds_read_u16 v112, v21 offset:680
	;; [unrolled: 1-line block ×11, first 2 shown]
.LBB0_15:
	s_or_b32 exec_lo, exec_lo, s1
	v_and_b32_e32 v1, 0xff, v20
	v_add_nc_u32_e32 v28, 55, v20
	v_add_nc_u32_e32 v12, 0x6e, v20
	v_mov_b32_e32 v54, 10
	v_add_nc_u32_e32 v13, 0xa5, v20
	v_mul_lo_u16 v1, v1, 37
	v_lshrrev_b16 v1, 8, v1
	v_sub_nc_u16 v2, v20, v1
	v_lshrrev_b16 v2, 1, v2
	v_and_b32_e32 v2, 0x7f, v2
	v_add_nc_u16 v1, v2, v1
	v_and_b32_e32 v2, 0xff, v28
	v_lshrrev_b16 v97, 2, v1
	v_mul_lo_u16 v1, v2, 37
	v_mul_lo_u16 v2, v97, 7
	v_lshrrev_b16 v3, 8, v1
	v_and_b32_e32 v1, 0xff, v12
	v_sub_nc_u16 v98, v20, v2
	v_sub_nc_u16 v2, v28, v3
	v_mul_lo_u16 v55, v1, 37
	v_mul_u32_u24_sdwa v4, v98, v54 dst_sel:DWORD dst_unused:UNUSED_PAD src0_sel:BYTE_0 src1_sel:DWORD
	v_lshrrev_b16 v2, 1, v2
	v_lshrrev_b16 v55, 8, v55
	v_lshlrev_b32_e32 v4, 2, v4
	v_and_b32_e32 v2, 0x7f, v2
	v_sub_nc_u16 v59, v12, v55
	s_clause 0x1
	global_load_dwordx4 v[136:139], v4, s[8:9]
	global_load_dwordx4 v[140:143], v4, s[8:9] offset:16
	v_add_nc_u16 v3, v2, v3
	v_and_b32_e32 v2, 0xff, v13
	global_load_dwordx2 v[168:169], v4, s[8:9] offset:32
	v_lshrrev_b16 v101, 2, v3
	v_lshrrev_b16 v3, 1, v59
	v_mul_lo_u16 v59, v2, 37
	v_mul_lo_u16 v61, v101, 7
	v_and_b32_e32 v3, 0x7f, v3
	v_lshrrev_b16 v4, 8, v59
	v_sub_nc_u16 v104, v28, v61
	v_add_nc_u16 v3, v3, v55
	v_sub_nc_u16 v55, v13, v4
	v_mul_u32_u24_sdwa v59, v104, v54 dst_sel:DWORD dst_unused:UNUSED_PAD src0_sel:BYTE_0 src1_sel:DWORD
	v_lshrrev_b16 v102, 2, v3
	v_lshrrev_b16 v3, 1, v55
	v_lshlrev_b32_e32 v55, 2, v59
	v_mul_lo_u16 v59, v102, 7
	v_and_b32_e32 v3, 0x7f, v3
	s_clause 0x1
	global_load_dwordx4 v[144:147], v55, s[8:9]
	global_load_dwordx4 v[148:151], v55, s[8:9] offset:16
	v_sub_nc_u16 v103, v12, v59
	v_add_nc_u16 v3, v3, v4
	v_mul_u32_u24_sdwa v4, v103, v54 dst_sel:DWORD dst_unused:UNUSED_PAD src0_sel:BYTE_0 src1_sel:DWORD
	v_lshrrev_b16 v3, 2, v3
	v_lshlrev_b32_e32 v59, 2, v4
	v_mul_lo_u16 v4, v3, 7
	s_clause 0x1
	global_load_dwordx4 v[152:155], v59, s[8:9]
	global_load_dwordx4 v[156:159], v59, s[8:9] offset:16
	v_sub_nc_u16 v4, v13, v4
	v_mul_u32_u24_sdwa v54, v4, v54 dst_sel:DWORD dst_unused:UNUSED_PAD src0_sel:BYTE_0 src1_sel:DWORD
	v_lshlrev_b32_e32 v54, 2, v54
	s_clause 0x4
	global_load_dwordx4 v[160:163], v54, s[8:9]
	global_load_dwordx4 v[164:167], v54, s[8:9] offset:16
	global_load_dwordx2 v[170:171], v55, s[8:9] offset:32
	global_load_dwordx2 v[172:173], v59, s[8:9] offset:32
	;; [unrolled: 1-line block ×3, first 2 shown]
	s_waitcnt vmcnt(0) lgkmcnt(0)
	s_barrier
	buffer_gl0_inv
	v_mul_f16_sdwa v54, v41, v136 dst_sel:DWORD dst_unused:UNUSED_PAD src0_sel:DWORD src1_sel:WORD_1
	v_mul_f16_sdwa v94, v24, v136 dst_sel:DWORD dst_unused:UNUSED_PAD src0_sel:DWORD src1_sel:WORD_1
	v_mul_f16_sdwa v55, v38, v137 dst_sel:DWORD dst_unused:UNUSED_PAD src0_sel:DWORD src1_sel:WORD_1
	v_mul_f16_sdwa v93, v14, v137 dst_sel:DWORD dst_unused:UNUSED_PAD src0_sel:DWORD src1_sel:WORD_1
	v_mul_f16_sdwa v59, v47, v138 dst_sel:DWORD dst_unused:UNUSED_PAD src0_sel:DWORD src1_sel:WORD_1
	v_mul_f16_sdwa v86, v26, v138 dst_sel:DWORD dst_unused:UNUSED_PAD src0_sel:DWORD src1_sel:WORD_1
	v_mul_f16_sdwa v61, v42, v139 dst_sel:DWORD dst_unused:UNUSED_PAD src0_sel:DWORD src1_sel:WORD_1
	v_mul_f16_sdwa v80, v15, v139 dst_sel:DWORD dst_unused:UNUSED_PAD src0_sel:DWORD src1_sel:WORD_1
	v_mul_f16_sdwa v71, v9, v140 dst_sel:DWORD dst_unused:UNUSED_PAD src0_sel:DWORD src1_sel:WORD_1
	v_mul_f16_sdwa v64, v50, v141 dst_sel:DWORD dst_unused:UNUSED_PAD src0_sel:DWORD src1_sel:WORD_1
	v_mul_f16_sdwa v72, v30, v141 dst_sel:DWORD dst_unused:UNUSED_PAD src0_sel:DWORD src1_sel:WORD_1
	v_mul_f16_sdwa v67, v46, v142 dst_sel:DWORD dst_unused:UNUSED_PAD src0_sel:DWORD src1_sel:WORD_1
	v_mul_f16_sdwa v81, v25, v142 dst_sel:DWORD dst_unused:UNUSED_PAD src0_sel:DWORD src1_sel:WORD_1
	v_mul_f16_sdwa v70, v35, v143 dst_sel:DWORD dst_unused:UNUSED_PAD src0_sel:DWORD src1_sel:WORD_1
	v_mul_f16_sdwa v87, v8, v143 dst_sel:DWORD dst_unused:UNUSED_PAD src0_sel:DWORD src1_sel:WORD_1
	v_mul_f16_sdwa v75, v57, v168 dst_sel:DWORD dst_unused:UNUSED_PAD src0_sel:DWORD src1_sel:WORD_1
	v_mul_f16_sdwa v92, v7, v168 dst_sel:DWORD dst_unused:UNUSED_PAD src0_sel:DWORD src1_sel:WORD_1
	v_mul_f16_sdwa v79, v52, v169 dst_sel:DWORD dst_unused:UNUSED_PAD src0_sel:DWORD src1_sel:WORD_1
	v_mul_f16_sdwa v91, v6, v169 dst_sel:DWORD dst_unused:UNUSED_PAD src0_sel:DWORD src1_sel:WORD_1
	v_mul_f16_sdwa v63, v36, v140 dst_sel:DWORD dst_unused:UNUSED_PAD src0_sel:DWORD src1_sel:WORD_1
	v_fma_f16 v96, v24, v136, -v54
	v_fmac_f16_e32 v94, v41, v136
	v_fma_f16 v95, v14, v137, -v55
	v_fmac_f16_e32 v93, v38, v137
	;; [unrolled: 2-line block ×4, first 2 shown]
	v_fmac_f16_e32 v71, v36, v140
	v_fma_f16 v78, v30, v141, -v64
	v_fmac_f16_e32 v72, v50, v141
	v_fma_f16 v85, v25, v142, -v67
	;; [unrolled: 2-line block ×3, first 2 shown]
	v_fmac_f16_e32 v87, v35, v143
	v_mul_f16_sdwa v82, v76, v144 dst_sel:DWORD dst_unused:UNUSED_PAD src0_sel:DWORD src1_sel:WORD_1
	v_mul_f16_sdwa v70, v51, v144 dst_sel:DWORD dst_unused:UNUSED_PAD src0_sel:DWORD src1_sel:WORD_1
	v_mul_f16_sdwa v67, v45, v145 dst_sel:DWORD dst_unused:UNUSED_PAD src0_sel:DWORD src1_sel:WORD_1
	v_mul_f16_sdwa v59, v48, v147 dst_sel:DWORD dst_unused:UNUSED_PAD src0_sel:DWORD src1_sel:WORD_1
	v_mul_f16_sdwa v139, v74, v148 dst_sel:DWORD dst_unused:UNUSED_PAD src0_sel:DWORD src1_sel:WORD_1
	v_mul_f16_sdwa v54, v11, v148 dst_sel:DWORD dst_unused:UNUSED_PAD src0_sel:DWORD src1_sel:WORD_1
	v_mul_f16_sdwa v55, v66, v149 dst_sel:DWORD dst_unused:UNUSED_PAD src0_sel:DWORD src1_sel:WORD_1
	v_mul_f16_sdwa v141, v134, v150 dst_sel:DWORD dst_unused:UNUSED_PAD src0_sel:DWORD src1_sel:WORD_1
	v_mul_f16_sdwa v142, v117, v151 dst_sel:DWORD dst_unused:UNUSED_PAD src0_sel:DWORD src1_sel:WORD_1
	v_fma_f16 v99, v7, v168, -v75
	v_fmac_f16_e32 v92, v57, v168
	v_fma_f16 v100, v6, v169, -v79
	v_fmac_f16_e32 v91, v52, v169
	v_fma_f16 v77, v9, v140, -v63
	v_mul_f16_sdwa v176, v125, v153 dst_sel:DWORD dst_unused:UNUSED_PAD src0_sel:DWORD src1_sel:WORD_1
	v_mul_f16_sdwa v177, v123, v154 dst_sel:DWORD dst_unused:UNUSED_PAD src0_sel:DWORD src1_sel:WORD_1
	;; [unrolled: 1-line block ×49, first 2 shown]
	v_fma_f16 v82, v51, v144, -v82
	v_fmac_f16_e32 v70, v76, v144
	v_fmac_f16_e32 v67, v73, v145
	;; [unrolled: 1-line block ×3, first 2 shown]
	v_fma_f16 v65, v11, v148, -v139
	v_fmac_f16_e32 v54, v74, v148
	v_fmac_f16_e32 v55, v69, v149
	v_fma_f16 v69, v56, v150, -v141
	v_fma_f16 v74, v18, v151, -v142
	;; [unrolled: 1-line block ×11, first 2 shown]
	v_fmac_f16_e32 v75, v114, v170
	v_fmac_f16_e32 v79, v113, v171
	v_fma_f16 v58, v34, v172, -v191
	v_fma_f16 v34, v105, v175, -v194
	v_sub_f16_e32 v105, v94, v91
	v_sub_f16_e32 v107, v93, v92
	;; [unrolled: 1-line block ×5, first 2 shown]
	v_mul_f16_sdwa v182, v126, v159 dst_sel:DWORD dst_unused:UNUSED_PAD src0_sel:DWORD src1_sel:WORD_1
	v_mul_f16_sdwa v192, v116, v173 dst_sel:DWORD dst_unused:UNUSED_PAD src0_sel:DWORD src1_sel:WORD_1
	v_fma_f16 v76, v45, v145, -v136
	v_fma_f16 v73, v60, v146, -v137
	v_fmac_f16_e32 v63, v68, v146
	v_fma_f16 v68, v48, v147, -v138
	v_fmac_f16_e32 v61, v134, v150
	v_fmac_f16_e32 v64, v117, v151
	v_fma_f16 v60, v27, v152, -v143
	v_fmac_f16_e32 v50, v119, v152
	v_fmac_f16_e32 v47, v125, v153
	v_fmac_f16_e32 v42, v123, v154
	v_fma_f16 v48, v19, v155, -v178
	v_fmac_f16_e32 v38, v120, v155
	v_fmac_f16_e32 v35, v127, v156
	v_fma_f16 v45, v33, v157, -v180
	v_fmac_f16_e32 v36, v124, v157
	v_fmac_f16_e32 v41, v121, v158
	;; [unrolled: 7-line block ×3, first 2 shown]
	v_fma_f16 v10, v108, v164, -v168
	v_fmac_f16_e32 v6, v131, v164
	v_fmac_f16_e32 v7, v135, v165
	v_fma_f16 v19, v110, v166, -v187
	v_fmac_f16_e32 v9, v133, v166
	v_fmac_f16_e32 v15, v132, v167
	;; [unrolled: 3-line block ×4, first 2 shown]
	v_add_f16_e32 v106, v96, v100
	v_add_f16_e32 v108, v95, v99
	;; [unrolled: 1-line block ×5, first 2 shown]
	v_mul_f16_e32 v115, 0xb853, v105
	v_mul_f16_e32 v116, 0xbb47, v105
	v_mul_f16_e32 v117, 0xbbeb, v105
	v_mul_f16_e32 v118, 0xba0c, v105
	v_mul_f16_e32 v105, 0xb482, v105
	v_mul_f16_e32 v119, 0xbb47, v107
	v_mul_f16_e32 v120, 0xba0c, v107
	v_mul_f16_e32 v121, 0x3482, v107
	v_mul_f16_e32 v122, 0x3beb, v107
	v_mul_f16_e32 v107, 0x3853, v107
	v_mul_f16_e32 v123, 0xbbeb, v109
	v_mul_f16_e32 v124, 0x3482, v109
	v_mul_f16_e32 v125, 0x3b47, v109
	v_mul_f16_e32 v126, 0xb853, v109
	v_mul_f16_e32 v109, 0xba0c, v109
	v_mul_f16_e32 v127, 0xba0c, v111
	v_mul_f16_e32 v128, 0x3beb, v111
	v_mul_f16_e32 v129, 0xb853, v111
	v_mul_f16_e32 v130, 0xb482, v111
	v_mul_f16_e32 v111, 0x3b47, v111
	v_mul_f16_e32 v131, 0xb482, v113
	v_mul_f16_e32 v132, 0x3853, v113
	v_mul_f16_e32 v133, 0xba0c, v113
	v_mul_f16_e32 v134, 0x3b47, v113
	v_mul_f16_e32 v135, 0xbbeb, v113
	v_sub_f16_e32 v113, v70, v79
	v_sub_f16_e32 v137, v67, v75
	v_fma_f16 v66, v66, v149, -v140
	v_fma_f16 v53, v53, v159, -v182
	v_add_f16_e32 v136, v82, v89
	v_add_f16_e32 v138, v76, v83
	v_fma_f16 v141, v106, 0x3abb, -v115
	v_fmac_f16_e32 v115, 0x3abb, v106
	v_fma_f16 v142, v106, 0x36a6, -v116
	v_fmac_f16_e32 v116, 0x36a6, v106
	;; [unrolled: 2-line block ×25, first 2 shown]
	v_mul_f16_e32 v114, 0xb853, v113
	v_mul_f16_e32 v162, 0xbb47, v113
	;; [unrolled: 1-line block ×10, first 2 shown]
	v_fma_f16 v62, v62, v173, -v192
	v_fma_f16 v172, v136, 0x3abb, -v114
	v_fmac_f16_e32 v114, 0x3abb, v136
	v_fma_f16 v173, v136, 0x36a6, -v162
	v_fmac_f16_e32 v162, 0x36a6, v136
	;; [unrolled: 2-line block ×10, first 2 shown]
	v_add_f16_e32 v138, v43, v141
	v_add_f16_e32 v115, v43, v115
	;; [unrolled: 1-line block ×9, first 2 shown]
	v_sub_f16_e32 v139, v63, v64
	v_add_f16_e32 v105, v43, v105
	v_add_f16_e32 v106, v106, v138
	;; [unrolled: 1-line block ×11, first 2 shown]
	v_mul_f16_e32 v169, 0xbbeb, v139
	v_add_f16_e32 v105, v107, v105
	v_add_f16_e32 v114, v40, v114
	;; [unrolled: 1-line block ×10, first 2 shown]
	v_mul_f16_e32 v171, 0x3b47, v139
	v_fma_f16 v145, v140, 0xb08e, -v169
	v_fmac_f16_e32 v169, 0xb08e, v140
	v_add_f16_e32 v107, v40, v172
	v_add_f16_e32 v142, v40, v174
	v_add_f16_e32 v143, v40, v163
	v_add_f16_e32 v117, v125, v117
	v_add_f16_e32 v118, v126, v118
	v_add_f16_e32 v105, v109, v105
	v_add_f16_e32 v109, v165, v114
	v_add_f16_e32 v137, v137, v113
	v_add_f16_e32 v106, v110, v106
	v_add_f16_e32 v110, v154, v115
	v_add_f16_e32 v113, v128, v116
	v_add_f16_e32 v115, v155, v119
	v_add_f16_e32 v119, v157, v121
	v_fma_f16 v182, v140, 0x36a6, -v171
	v_add_f16_e32 v146, v40, v164
	v_add_f16_e32 v107, v136, v107
	;; [unrolled: 1-line block ×14, first 2 shown]
	v_mul_f16_e32 v115, 0xb853, v139
	v_fmac_f16_e32 v171, 0x36a6, v140
	v_sub_f16_e32 v119, v59, v61
	v_add_f16_e32 v144, v40, v175
	v_add_f16_e32 v126, v168, v146
	;; [unrolled: 1-line block ×7, first 2 shown]
	v_fma_f16 v118, v140, 0x3abb, -v115
	v_fmac_f16_e32 v115, 0x3abb, v140
	v_add_f16_e32 v123, v171, v124
	v_add_f16_e32 v124, v68, v69
	v_mul_f16_e32 v129, 0xba0c, v119
	v_mul_f16_e32 v170, 0x3482, v139
	v_add_f16_e32 v138, v40, v173
	v_add_f16_e32 v141, v40, v162
	;; [unrolled: 1-line block ×4, first 2 shown]
	v_fma_f16 v126, v124, 0xb93d, -v129
	v_mul_f16_e32 v130, 0xb853, v119
	v_fma_f16 v181, v140, 0xbbad, -v170
	v_fmac_f16_e32 v170, 0xbbad, v140
	v_add_f16_e32 v114, v177, v138
	v_add_f16_e32 v122, v166, v141
	;; [unrolled: 1-line block ×3, first 2 shown]
	v_mul_f16_e32 v117, 0xba0c, v139
	v_add_f16_e32 v118, v118, v125
	v_mul_f16_e32 v125, 0x3beb, v119
	v_fmac_f16_e32 v129, 0xb93d, v124
	v_add_f16_e32 v121, v126, v121
	v_fma_f16 v126, v124, 0x3abb, -v130
	v_add_f16_e32 v147, v40, v176
	v_add_f16_e32 v128, v181, v114
	;; [unrolled: 1-line block ×4, first 2 shown]
	v_fma_f16 v120, v140, 0xb93d, -v117
	v_fmac_f16_e32 v117, 0xb93d, v140
	v_fma_f16 v131, v124, 0xb08e, -v125
	v_fmac_f16_e32 v125, 0xb08e, v124
	v_add_f16_e32 v127, v129, v127
	v_mul_f16_e32 v129, 0xb482, v119
	v_add_f16_e32 v116, v126, v116
	v_mul_f16_e32 v119, 0x3b47, v119
	v_fmac_f16_e32 v130, 0x3abb, v124
	v_sub_f16_e32 v126, v54, v55
	v_add_f16_e32 v136, v180, v147
	v_add_f16_e32 v117, v117, v137
	;; [unrolled: 1-line block ×4, first 2 shown]
	v_fma_f16 v125, v124, 0xbbad, -v129
	v_fmac_f16_e32 v129, 0xbbad, v124
	v_fma_f16 v131, v124, 0x36a6, -v119
	v_fmac_f16_e32 v119, 0x36a6, v124
	v_add_f16_e32 v123, v130, v123
	v_add_f16_e32 v124, v65, v66
	v_mul_f16_e32 v130, 0xb482, v126
	v_add_f16_e32 v120, v120, v136
	v_add_f16_e32 v118, v125, v118
	;; [unrolled: 1-line block ×3, first 2 shown]
	v_mul_f16_e32 v125, 0x3853, v126
	v_fma_f16 v129, v124, 0xbbad, -v130
	v_add_f16_e32 v117, v119, v117
	v_fmac_f16_e32 v130, 0xbbad, v124
	v_mul_f16_e32 v119, 0xba0c, v126
	v_add_f16_e32 v120, v131, v120
	v_fma_f16 v131, v124, 0x3abb, -v125
	v_add_f16_e32 v121, v129, v121
	v_fmac_f16_e32 v125, 0x3abb, v124
	v_add_f16_e32 v127, v130, v127
	v_fma_f16 v129, v124, 0xb93d, -v119
	v_mul_f16_e32 v130, 0x3b47, v126
	v_add_f16_e32 v128, v131, v128
	v_add_f16_e32 v122, v125, v122
	v_mul_f16_e32 v125, 0xbbeb, v126
	v_add_f16_e32 v126, v129, v116
	v_fmac_f16_e32 v119, 0xb93d, v124
	v_fma_f16 v116, v124, 0x36a6, -v130
	v_sub_f16_e32 v131, v50, v57
	v_fma_f16 v129, v124, 0xb08e, -v125
	v_fmac_f16_e32 v125, 0xb08e, v124
	v_add_f16_e32 v119, v119, v123
	v_add_f16_e32 v118, v116, v118
	;; [unrolled: 1-line block ×3, first 2 shown]
	v_mul_f16_e32 v123, 0xb853, v131
	v_sub_f16_e32 v132, v47, v52
	v_fmac_f16_e32 v130, 0x36a6, v124
	v_add_f16_e32 v117, v125, v117
	v_add_f16_e32 v135, v56, v58
	v_fma_f16 v125, v116, 0x3abb, -v123
	v_fmac_f16_e32 v123, 0x3abb, v116
	v_mul_f16_e32 v136, 0xbb47, v132
	v_add_f16_e32 v124, v130, v115
	v_mul_f16_e32 v130, 0xbbeb, v131
	v_mul_f16_e32 v115, 0xbb47, v131
	v_add_f16_e32 v123, v39, v123
	v_fma_f16 v138, v135, 0x36a6, -v136
	v_fmac_f16_e32 v136, 0x36a6, v135
	v_mul_f16_e32 v133, 0xba0c, v131
	v_mul_f16_e32 v131, 0xb482, v131
	v_fma_f16 v134, v116, 0xb08e, -v130
	v_fmac_f16_e32 v130, 0xb08e, v116
	v_add_f16_e32 v125, v39, v125
	v_add_f16_e32 v123, v136, v123
	v_mul_f16_e32 v136, 0x3482, v132
	v_add_f16_e32 v120, v129, v120
	v_fma_f16 v129, v116, 0x36a6, -v115
	v_fmac_f16_e32 v115, 0x36a6, v116
	v_fma_f16 v137, v116, 0xb93d, -v133
	v_fmac_f16_e32 v133, 0xb93d, v116
	v_fma_f16 v139, v116, 0xbbad, -v131
	v_mul_f16_e32 v140, 0xba0c, v132
	v_fmac_f16_e32 v131, 0xbbad, v116
	v_add_f16_e32 v116, v138, v125
	v_mul_f16_e32 v138, 0x3beb, v132
	v_fma_f16 v141, v135, 0xbbad, -v136
	v_add_f16_e32 v130, v39, v130
	v_fmac_f16_e32 v136, 0xbbad, v135
	v_add_f16_e32 v125, v39, v129
	v_fma_f16 v129, v135, 0xb93d, -v140
	v_add_f16_e32 v115, v39, v115
	v_fmac_f16_e32 v140, 0xb93d, v135
	v_add_f16_e32 v134, v39, v134
	v_add_f16_e32 v137, v39, v137
	v_fma_f16 v142, v135, 0xb08e, -v138
	v_add_f16_e32 v130, v136, v130
	v_mul_f16_e32 v132, 0x3853, v132
	v_sub_f16_e32 v136, v42, v46
	v_add_f16_e32 v125, v129, v125
	v_add_f16_e32 v115, v140, v115
	;; [unrolled: 1-line block ×5, first 2 shown]
	v_fmac_f16_e32 v138, 0xb08e, v135
	v_add_f16_e32 v137, v39, v139
	v_fma_f16 v139, v135, 0x3abb, -v132
	v_fmac_f16_e32 v132, 0x3abb, v135
	v_add_f16_e32 v135, v51, v53
	v_mul_f16_e32 v140, 0xbbeb, v136
	v_add_f16_e32 v131, v39, v131
	v_add_f16_e32 v133, v138, v133
	;; [unrolled: 1-line block ×3, first 2 shown]
	v_mul_f16_e32 v138, 0x3482, v136
	v_fma_f16 v139, v135, 0xb08e, -v140
	v_fmac_f16_e32 v140, 0xb08e, v135
	v_add_f16_e32 v131, v132, v131
	v_mul_f16_e32 v132, 0x3b47, v136
	v_fma_f16 v141, v135, 0xbbad, -v138
	v_fmac_f16_e32 v138, 0xbbad, v135
	v_add_f16_e32 v123, v140, v123
	v_mul_f16_e32 v140, 0xb853, v136
	v_add_f16_e32 v116, v139, v116
	v_fma_f16 v139, v135, 0x36a6, -v132
	v_add_f16_e32 v125, v141, v125
	v_add_f16_e32 v115, v138, v115
	v_mul_f16_e32 v136, 0xba0c, v136
	v_fmac_f16_e32 v132, 0x36a6, v135
	v_fma_f16 v138, v135, 0x3abb, -v140
	v_sub_f16_e32 v141, v38, v41
	v_add_f16_e32 v129, v139, v129
	v_fmac_f16_e32 v140, 0x3abb, v135
	v_fma_f16 v139, v135, 0xb93d, -v136
	v_fmac_f16_e32 v136, 0xb93d, v135
	v_add_f16_e32 v130, v132, v130
	v_add_f16_e32 v132, v138, v134
	;; [unrolled: 1-line block ×3, first 2 shown]
	v_mul_f16_e32 v135, 0xba0c, v141
	v_add_f16_e32 v137, v139, v137
	v_add_f16_e32 v131, v136, v131
	v_mul_f16_e32 v139, 0xb853, v141
	v_mul_f16_e32 v138, 0x3beb, v141
	v_fma_f16 v136, v134, 0xb93d, -v135
	v_add_f16_e32 v133, v140, v133
	v_fmac_f16_e32 v135, 0xb93d, v134
	v_add_f16_e32 v43, v43, v96
	v_fma_f16 v140, v134, 0xb08e, -v138
	v_add_f16_e32 v116, v136, v116
	v_fma_f16 v136, v134, 0x3abb, -v139
	v_fmac_f16_e32 v138, 0xb08e, v134
	v_add_f16_e32 v123, v135, v123
	v_mul_f16_e32 v135, 0xb482, v141
	v_add_f16_e32 v43, v43, v95
	v_add_f16_e32 v129, v136, v129
	v_mul_f16_e32 v136, 0x3b47, v141
	v_add_f16_e32 v115, v138, v115
	v_sub_f16_e32 v138, v35, v36
	v_add_f16_e32 v125, v140, v125
	v_fma_f16 v140, v134, 0xbbad, -v135
	v_fma_f16 v141, v134, 0x36a6, -v136
	v_fmac_f16_e32 v136, 0x36a6, v134
	v_fmac_f16_e32 v135, 0xbbad, v134
	v_add_f16_e32 v142, v44, v45
	v_mul_f16_e32 v143, 0xb482, v138
	v_add_f16_e32 v43, v43, v88
	v_add_f16_e32 v131, v136, v131
	v_mul_f16_e32 v136, 0x3853, v138
	v_fmac_f16_e32 v139, 0x3abb, v134
	v_add_f16_e32 v133, v135, v133
	v_fma_f16 v134, v142, 0xbbad, -v143
	v_add_f16_e32 v135, v141, v137
	v_fma_f16 v137, v142, 0x3abb, -v136
	v_fmac_f16_e32 v136, 0x3abb, v142
	v_add_f16_e32 v43, v43, v84
	v_add_f16_e32 v134, v134, v116
	v_mul_f16_e32 v116, 0xba0c, v138
	v_add_f16_e32 v40, v40, v82
	v_add_f16_e32 v136, v136, v115
	v_mul_f16_e32 v115, 0x3b47, v138
	v_add_f16_e32 v43, v43, v77
	v_add_f16_e32 v130, v139, v130
	v_fma_f16 v139, v142, 0xb93d, -v116
	v_add_f16_e32 v125, v137, v125
	v_mul_f16_e32 v137, 0xbbeb, v138
	v_fmac_f16_e32 v116, 0xb93d, v142
	v_fma_f16 v138, v142, 0x36a6, -v115
	v_fmac_f16_e32 v115, 0x36a6, v142
	v_add_f16_e32 v43, v43, v78
	v_add_f16_e32 v40, v40, v76
	;; [unrolled: 1-line block ×6, first 2 shown]
	v_mov_b32_e32 v115, 0x9a
	v_mov_b32_e32 v116, 1
	v_add_f16_e32 v40, v40, v73
	v_add_f16_e32 v132, v138, v132
	;; [unrolled: 1-line block ×3, first 2 shown]
	v_mul_u32_u24_sdwa v97, v97, v115 dst_sel:DWORD dst_unused:UNUSED_PAD src0_sel:WORD_0 src1_sel:DWORD
	v_lshlrev_b32_sdwa v98, v116, v98 dst_sel:DWORD dst_unused:UNUSED_PAD src0_sel:DWORD src1_sel:BYTE_0
	v_add_f16_e32 v138, v39, v60
	v_add_f16_e32 v40, v40, v68
	;; [unrolled: 1-line block ×4, first 2 shown]
	v_add3_u32 v39, 0, v97, v98
	v_add_f16_e32 v97, v138, v56
	v_add_f16_e32 v40, v40, v65
	;; [unrolled: 1-line block ×3, first 2 shown]
	ds_write_b16 v39, v43
	ds_write_b16 v39, v109 offset:14
	v_add_f16_e32 v97, v97, v51
	v_add_f16_e32 v40, v40, v66
	v_lshlrev_b32_sdwa v98, v116, v104 dst_sel:DWORD dst_unused:UNUSED_PAD src0_sel:DWORD src1_sel:BYTE_0
	ds_write_b16 v39, v110 offset:28
	ds_write_b16 v39, v111 offset:42
	;; [unrolled: 1-line block ×3, first 2 shown]
	v_add_f16_e32 v43, v97, v48
	v_add_f16_e32 v40, v40, v69
	v_mul_u32_u24_sdwa v97, v101, v115 dst_sel:DWORD dst_unused:UNUSED_PAD src0_sel:WORD_0 src1_sel:DWORD
	ds_write_b16 v39, v113 offset:70
	ds_write_b16 v39, v114 offset:84
	v_add_f16_e32 v43, v43, v44
	v_add_f16_e32 v40, v40, v74
	ds_write_b16 v39, v108 offset:98
	ds_write_b16 v39, v107 offset:112
	v_fmac_f16_e32 v143, 0xbbad, v142
	v_add_f16_e32 v43, v43, v45
	v_add_f16_e32 v101, v40, v83
	v_add3_u32 v40, 0, v97, v98
	v_lshlrev_b32_sdwa v98, v116, v103 dst_sel:DWORD dst_unused:UNUSED_PAD src0_sel:DWORD src1_sel:BYTE_0
	v_add_f16_e32 v129, v139, v129
	v_add_f16_e32 v43, v43, v49
	;; [unrolled: 1-line block ×3, first 2 shown]
	ds_write_b16 v39, v106 offset:126
	ds_write_b16 v39, v105 offset:140
	ds_write_b16 v40, v97
	ds_write_b16 v40, v121 offset:14
	v_add_f16_e32 v43, v43, v53
	v_mul_u32_u24_sdwa v97, v102, v115 dst_sel:DWORD dst_unused:UNUSED_PAD src0_sel:WORD_0 src1_sel:DWORD
	v_fma_f16 v139, v142, 0xb08e, -v137
	v_fmac_f16_e32 v137, 0xb08e, v142
	v_add_f16_e32 v123, v143, v123
	v_add_f16_e32 v101, v43, v58
	v_add3_u32 v43, 0, v97, v98
	v_add_f16_e32 v135, v139, v135
	v_add_f16_e32 v131, v137, v131
	ds_write_b16 v40, v128 offset:28
	ds_write_b16 v40, v126 offset:42
	v_add_f16_e32 v97, v101, v62
	ds_write_b16 v40, v118 offset:56
	ds_write_b16 v40, v120 offset:70
	;; [unrolled: 1-line block ×7, first 2 shown]
	ds_write_b16 v43, v97
	ds_write_b16 v43, v134 offset:14
	ds_write_b16 v43, v125 offset:28
	;; [unrolled: 1-line block ×10, first 2 shown]
	s_and_saveexec_b32 s1, s0
	s_cbranch_execz .LBB0_17
; %bb.16:
	v_sub_f16_e32 v101, v30, v25
	v_add_f16_e32 v98, v33, v34
	v_sub_f16_e32 v103, v26, v24
	v_add_f16_e32 v102, v31, v32
	v_sub_f16_e32 v105, v14, v15
	v_mul_f16_e32 v110, 0xb482, v101
	v_add_f16_e32 v104, v27, v29
	v_mul_f16_e32 v111, 0x3853, v103
	v_sub_f16_e32 v107, v8, v9
	v_mul_f16_e32 v112, 0xba0c, v105
	v_fmamk_f16 v120, v98, 0xbbad, v110
	v_fma_f16 v110, v98, 0xbbad, -v110
	v_mul_f16_e32 v117, 0xba0c, v101
	v_fmamk_f16 v121, v102, 0x3abb, v111
	v_fma_f16 v111, v102, 0x3abb, -v111
	v_add_f16_e32 v120, v16, v120
	v_add_f16_e32 v110, v16, v110
	;; [unrolled: 1-line block ×3, first 2 shown]
	v_sub_f16_e32 v109, v6, v7
	v_mul_f16_e32 v113, 0x3b47, v107
	v_mul_f16_e32 v118, 0x3beb, v103
	v_fmamk_f16 v122, v104, 0xb93d, v112
	v_fma_f16 v112, v104, 0xb93d, -v112
	v_add_f16_e32 v120, v121, v120
	v_add_f16_e32 v110, v111, v110
	v_fmamk_f16 v111, v98, 0xb93d, v117
	v_add_f16_e32 v108, v10, v11
	v_mul_f16_e32 v114, 0xbbeb, v109
	v_mul_f16_e32 v119, 0xb853, v105
	v_fmamk_f16 v123, v106, 0x36a6, v113
	v_fma_f16 v113, v106, 0x36a6, -v113
	v_add_f16_e32 v120, v122, v120
	v_fmamk_f16 v121, v102, 0xb08e, v118
	v_add_f16_e32 v110, v112, v110
	v_add_f16_e32 v111, v16, v111
	v_fma_f16 v117, v98, 0xb93d, -v117
	v_add_f16_e32 v112, v123, v120
	v_fmamk_f16 v120, v108, 0xb08e, v114
	v_add_f16_e32 v110, v113, v110
	v_add_f16_e32 v111, v121, v111
	v_fmamk_f16 v113, v104, 0x3abb, v119
	v_mul_f16_e32 v121, 0xb482, v107
	v_fma_f16 v114, v108, 0xb08e, -v114
	v_add_f16_e32 v112, v120, v112
	v_add_f16_e32 v117, v16, v117
	;; [unrolled: 1-line block ×3, first 2 shown]
	v_fmamk_f16 v113, v106, 0xbbad, v121
	v_add_f16_e32 v110, v114, v110
	v_mul_f16_e32 v114, 0xbbeb, v101
	v_fma_f16 v118, v102, 0xb08e, -v118
	v_mul_f16_e32 v122, 0x3482, v103
	v_add_f16_e32 v111, v113, v111
	v_mul_f16_e32 v113, 0x3b47, v109
	v_fmamk_f16 v120, v98, 0xb08e, v114
	v_add_f16_e32 v117, v118, v117
	v_fma_f16 v118, v104, 0x3abb, -v119
	v_fmamk_f16 v123, v102, 0xbbad, v122
	v_fmamk_f16 v119, v108, 0x36a6, v113
	v_add_f16_e32 v120, v16, v120
	v_mul_f16_e32 v124, 0x3b47, v105
	v_add_f16_e32 v117, v118, v117
	v_fma_f16 v118, v106, 0xbbad, -v121
	v_add_f16_e32 v111, v119, v111
	v_add_f16_e32 v119, v123, v120
	v_fmamk_f16 v120, v104, 0x36a6, v124
	v_mul_f16_e32 v121, 0xb853, v107
	v_add_f16_e32 v117, v118, v117
	v_fma_f16 v113, v108, 0x36a6, -v113
	v_fma_f16 v114, v98, 0xb08e, -v114
	v_add_f16_e32 v118, v120, v119
	v_fmamk_f16 v119, v106, 0x3abb, v121
	v_mul_f16_e32 v120, 0xbb47, v101
	v_add_f16_e32 v97, v16, v33
	v_add_f16_e32 v113, v113, v117
	;; [unrolled: 1-line block ×3, first 2 shown]
	v_fma_f16 v117, v102, 0xbbad, -v122
	v_add_f16_e32 v118, v119, v118
	v_fmamk_f16 v119, v98, 0x36a6, v120
	v_mul_f16_e32 v122, 0xba0c, v103
	v_add_f16_e32 v97, v97, v31
	v_add_f16_e32 v114, v117, v114
	v_fma_f16 v117, v104, 0x36a6, -v124
	v_add_f16_e32 v119, v16, v119
	v_fmamk_f16 v124, v102, 0xb93d, v122
	v_mul_f16_e32 v125, 0x3482, v105
	v_add_f16_e32 v97, v97, v27
	v_mul_f16_e32 v123, 0xba0c, v109
	v_add_f16_e32 v114, v117, v114
	v_fma_f16 v117, v106, 0x3abb, -v121
	v_add_f16_e32 v119, v124, v119
	v_fmamk_f16 v121, v104, 0xbbad, v125
	v_mul_f16_e32 v124, 0x3beb, v107
	v_fma_f16 v120, v98, 0x36a6, -v120
	v_add_f16_e32 v97, v97, v18
	v_add_f16_e32 v114, v117, v114
	v_fma_f16 v117, v108, 0xb93d, -v123
	v_add_f16_e32 v119, v121, v119
	v_fmamk_f16 v121, v106, 0xb08e, v124
	v_add_f16_e32 v120, v16, v120
	v_fma_f16 v122, v102, 0xb93d, -v122
	v_mul_f16_e32 v101, 0xb853, v101
	v_add_f16_e32 v97, v97, v10
	v_add_f16_e32 v114, v117, v114
	;; [unrolled: 1-line block ×4, first 2 shown]
	v_fma_f16 v120, v104, 0xbbad, -v125
	v_fma_f16 v121, v98, 0x3abb, -v101
	v_mul_f16_e32 v103, 0xbb47, v103
	v_fmamk_f16 v98, v98, 0x3abb, v101
	v_add_f16_e32 v97, v97, v11
	v_add_f16_e32 v101, v120, v119
	;; [unrolled: 1-line block ×3, first 2 shown]
	v_fma_f16 v120, v102, 0x36a6, -v103
	v_mul_f16_e32 v105, 0xbbeb, v105
	v_add_f16_e32 v16, v16, v98
	v_fmamk_f16 v98, v102, 0x36a6, v103
	v_add_f16_e32 v97, v97, v19
	v_add_f16_e32 v103, v120, v119
	v_fma_f16 v119, v104, 0xb08e, -v105
	v_mul_f16_e32 v107, 0xba0c, v107
	v_add_f16_e32 v16, v98, v16
	v_fmamk_f16 v98, v104, 0xb08e, v105
	v_add_f16_e32 v97, v97, v29
	v_fma_f16 v102, v106, 0xb08e, -v124
	v_add_f16_e32 v103, v119, v103
	v_fma_f16 v105, v106, 0xb93d, -v107
	v_add_f16_e32 v16, v98, v16
	v_mul_f16_e32 v98, 0xb482, v109
	v_mul_f16_e32 v122, 0x3853, v109
	v_add_f16_e32 v97, v97, v32
	v_add_f16_e32 v101, v102, v101
	v_fmamk_f16 v102, v106, 0xb93d, v107
	v_add_f16_e32 v103, v105, v103
	v_mul_u32_u24_sdwa v105, v3, v115 dst_sel:DWORD dst_unused:UNUSED_PAD src0_sel:WORD_0 src1_sel:DWORD
	v_lshlrev_b32_sdwa v106, v116, v4 dst_sel:DWORD dst_unused:UNUSED_PAD src0_sel:DWORD src1_sel:BYTE_0
	v_fma_f16 v107, v108, 0xbbad, -v98
	v_fma_f16 v109, v108, 0x3abb, -v122
	v_add_f16_e32 v97, v97, v34
	v_fmamk_f16 v126, v108, 0xb93d, v123
	v_fmamk_f16 v104, v108, 0x3abb, v122
	v_add_f16_e32 v16, v102, v16
	v_fmamk_f16 v98, v108, 0xbbad, v98
	v_add3_u32 v102, 0, v105, v106
	v_add_f16_e32 v103, v107, v103
	v_add_f16_e32 v101, v109, v101
	;; [unrolled: 1-line block ×5, first 2 shown]
	ds_write_b16 v102, v97
	ds_write_b16 v102, v103 offset:14
	ds_write_b16 v102, v101 offset:28
	;; [unrolled: 1-line block ×10, first 2 shown]
.LBB0_17:
	s_or_b32 exec_lo, exec_lo, s1
	v_add_f16_e32 v16, v37, v94
	v_sub_f16_e32 v96, v96, v100
	v_add_f16_e32 v94, v94, v91
	v_sub_f16_e32 v95, v95, v99
	v_add_f16_e32 v97, v93, v92
	v_add_f16_e32 v16, v16, v93
	v_mul_f16_e32 v98, 0xbb47, v96
	v_mul_f16_e32 v99, 0xbbeb, v96
	;; [unrolled: 1-line block ×4, first 2 shown]
	v_add_f16_e32 v16, v16, v86
	v_fmamk_f16 v105, v94, 0x36a6, v98
	v_fma_f16 v98, v94, 0x36a6, -v98
	v_mul_f16_e32 v100, 0xba0c, v96
	v_mul_f16_e32 v96, 0xb482, v96
	v_add_f16_e32 v16, v16, v80
	v_mul_f16_e32 v103, 0x3482, v95
	v_fmamk_f16 v106, v94, 0xb08e, v99
	v_fma_f16 v99, v94, 0xb08e, -v99
	v_add_f16_e32 v98, v37, v98
	v_add_f16_e32 v16, v16, v71
	v_mul_f16_e32 v101, 0xbb47, v95
	v_fmamk_f16 v104, v94, 0x3abb, v93
	v_fmamk_f16 v107, v94, 0xb93d, v100
	v_fma_f16 v100, v94, 0xb93d, -v100
	v_add_f16_e32 v16, v16, v72
	v_fmamk_f16 v108, v94, 0xbbad, v96
	v_fmamk_f16 v109, v97, 0xb93d, v102
	v_add_f16_e32 v99, v37, v99
	v_sub_f16_e32 v88, v88, v90
	v_add_f16_e32 v16, v16, v81
	v_fma_f16 v93, v94, 0x3abb, -v93
	v_fma_f16 v94, v94, 0xbbad, -v96
	v_fmamk_f16 v96, v97, 0x36a6, v101
	v_add_f16_e32 v104, v37, v104
	v_add_f16_e32 v16, v16, v87
	;; [unrolled: 1-line block ×3, first 2 shown]
	v_mul_f16_e32 v87, 0xbbeb, v88
	v_fma_f16 v101, v97, 0x36a6, -v101
	v_add_f16_e32 v93, v37, v93
	v_add_f16_e32 v16, v16, v92
	;; [unrolled: 1-line block ×7, first 2 shown]
	v_fma_f16 v16, v97, 0xb93d, -v102
	v_fma_f16 v102, v97, 0xbbad, -v103
	v_add_f16_e32 v107, v37, v107
	v_add_f16_e32 v37, v37, v94
	;; [unrolled: 1-line block ×4, first 2 shown]
	v_mul_f16_e32 v98, 0x3beb, v95
	v_mul_f16_e32 v95, 0x3853, v95
	v_add_f16_e32 v99, v102, v99
	v_fmamk_f16 v96, v97, 0xbbad, v103
	v_add_f16_e32 v93, v101, v93
	v_fmamk_f16 v90, v97, 0xb08e, v98
	v_fma_f16 v98, v97, 0xb08e, -v98
	v_fmamk_f16 v102, v97, 0x3abb, v95
	v_fma_f16 v95, v97, 0x3abb, -v95
	v_add_f16_e32 v96, v96, v106
	v_sub_f16_e32 v84, v84, v85
	v_add_f16_e32 v92, v98, v92
	v_add_f16_e32 v97, v102, v100
	v_fmamk_f16 v98, v86, 0xb08e, v87
	v_mul_f16_e32 v100, 0x3482, v88
	v_add_f16_e32 v37, v95, v37
	v_fma_f16 v87, v86, 0xb08e, -v87
	v_mul_f16_e32 v95, 0x3b47, v88
	v_add_f16_e32 v94, v98, v94
	v_fmamk_f16 v98, v86, 0xbbad, v100
	v_fma_f16 v100, v86, 0xbbad, -v100
	v_add_f16_e32 v87, v87, v93
	v_fmamk_f16 v93, v86, 0x36a6, v95
	v_add_f16_e32 v90, v90, v107
	v_fma_f16 v95, v86, 0x36a6, -v95
	v_add_f16_e32 v16, v100, v16
	v_mul_f16_e32 v100, 0xb853, v88
	v_add_f16_e32 v93, v93, v96
	v_mul_f16_e32 v85, 0xba0c, v88
	;; [unrolled: 2-line block ×3, first 2 shown]
	v_fmamk_f16 v88, v86, 0x3abb, v100
	v_fma_f16 v96, v86, 0x3abb, -v100
	v_add_f16_e32 v95, v95, v99
	v_fmamk_f16 v99, v86, 0xb93d, v85
	v_fma_f16 v85, v86, 0xb93d, -v85
	v_add_f16_e32 v88, v88, v90
	v_add_f16_e32 v90, v96, v92
	v_fmamk_f16 v86, v80, 0xb93d, v81
	v_fma_f16 v81, v80, 0xb93d, -v81
	v_mul_f16_e32 v96, 0x3beb, v84
	v_add_f16_e32 v37, v85, v37
	v_add_f16_e32 v92, v99, v97
	;; [unrolled: 1-line block ×3, first 2 shown]
	v_mul_f16_e32 v86, 0xb853, v84
	v_add_f16_e32 v81, v81, v87
	v_fmamk_f16 v87, v80, 0xb08e, v96
	v_fma_f16 v94, v80, 0xb08e, -v96
	v_mul_f16_e32 v96, 0xb482, v84
	v_fmamk_f16 v97, v80, 0x3abb, v86
	v_fma_f16 v86, v80, 0x3abb, -v86
	v_mul_f16_e32 v84, 0x3b47, v84
	v_add_f16_e32 v16, v94, v16
	v_fmamk_f16 v94, v80, 0xbbad, v96
	v_add_f16_e32 v101, v109, v105
	v_add_f16_e32 v86, v86, v95
	v_fma_f16 v95, v80, 0xbbad, -v96
	v_add_f16_e32 v93, v97, v93
	v_add_f16_e32 v88, v94, v88
	v_sub_f16_e32 v94, v77, v78
	v_add_f16_e32 v77, v17, v70
	v_fmamk_f16 v78, v80, 0x36a6, v84
	v_add_f16_e32 v90, v95, v90
	v_add_f16_e32 v95, v71, v72
	v_mul_f16_e32 v71, 0xb482, v94
	v_add_f16_e32 v72, v77, v67
	v_add_f16_e32 v98, v98, v101
	;; [unrolled: 1-line block ×3, first 2 shown]
	v_fma_f16 v77, v80, 0x36a6, -v84
	v_mul_f16_e32 v80, 0x3853, v94
	v_fmamk_f16 v78, v95, 0xbbad, v71
	v_add_f16_e32 v84, v72, v63
	v_fma_f16 v71, v95, 0xbbad, -v71
	v_add_f16_e32 v87, v87, v98
	v_add_f16_e32 v37, v77, v37
	v_fmamk_f16 v77, v95, 0x3abb, v80
	v_add_f16_e32 v84, v84, v59
	v_add_f16_e32 v71, v71, v81
	v_mul_f16_e32 v81, 0xba0c, v94
	v_add_f16_e32 v72, v78, v85
	v_add_f16_e32 v78, v77, v87
	v_fma_f16 v77, v95, 0x3abb, -v80
	v_add_f16_e32 v80, v84, v54
	v_fma_f16 v87, v95, 0xb93d, -v81
	v_mul_f16_e32 v85, 0x3b47, v94
	v_fmamk_f16 v84, v95, 0xb93d, v81
	v_add_f16_e32 v77, v77, v16
	v_add_f16_e32 v16, v80, v55
	;; [unrolled: 1-line block ×3, first 2 shown]
	v_mul_f16_e32 v86, 0xbbeb, v94
	v_fmamk_f16 v96, v95, 0x36a6, v85
	v_sub_f16_e32 v87, v82, v89
	v_fma_f16 v82, v95, 0x36a6, -v85
	v_add_f16_e32 v81, v84, v93
	v_fmamk_f16 v85, v95, 0xb08e, v86
	v_add_f16_e32 v16, v16, v61
	v_add_f16_e32 v84, v96, v88
	;; [unrolled: 1-line block ×3, first 2 shown]
	v_mul_f16_e32 v89, 0xb853, v87
	v_fma_f16 v86, v95, 0xb08e, -v86
	v_add_f16_e32 v70, v82, v90
	v_add_f16_e32 v82, v85, v92
	v_mul_f16_e32 v92, 0xba0c, v87
	v_add_f16_e32 v16, v16, v64
	v_fmamk_f16 v90, v88, 0x3abb, v89
	v_add_f16_e32 v85, v86, v37
	v_mul_f16_e32 v37, 0xbb47, v87
	v_fma_f16 v86, v88, 0x3abb, -v89
	v_mul_f16_e32 v89, 0xbbeb, v87
	v_fmamk_f16 v94, v88, 0xb93d, v92
	v_mul_f16_e32 v87, 0xb482, v87
	v_add_f16_e32 v16, v16, v75
	v_sub_f16_e32 v76, v76, v83
	v_fma_f16 v92, v88, 0xb93d, -v92
	v_add_f16_e32 v83, v17, v94
	v_fmamk_f16 v94, v88, 0xbbad, v87
	v_add_f16_e32 v79, v16, v79
	v_add_f16_e32 v16, v17, v90
	v_fmamk_f16 v90, v88, 0x36a6, v37
	v_fma_f16 v37, v88, 0x36a6, -v37
	v_fmamk_f16 v93, v88, 0xb08e, v89
	v_fma_f16 v89, v88, 0xb08e, -v89
	v_add_f16_e32 v67, v67, v75
	v_mul_f16_e32 v75, 0xbb47, v76
	v_fma_f16 v87, v88, 0xbbad, -v87
	v_add_f16_e32 v88, v17, v92
	v_add_f16_e32 v92, v17, v94
	v_mul_f16_e32 v94, 0xba0c, v76
	v_add_f16_e32 v86, v17, v86
	v_add_f16_e32 v90, v17, v90
	;; [unrolled: 1-line block ×5, first 2 shown]
	v_fmamk_f16 v95, v67, 0x36a6, v75
	v_add_f16_e32 v17, v17, v87
	v_fma_f16 v75, v67, 0x36a6, -v75
	v_mul_f16_e32 v87, 0x3482, v76
	v_fmamk_f16 v96, v67, 0xb93d, v94
	v_fma_f16 v94, v67, 0xb93d, -v94
	v_sub_f16_e32 v73, v73, v74
	v_add_f16_e32 v75, v75, v86
	v_fmamk_f16 v86, v67, 0xbbad, v87
	v_fma_f16 v87, v67, 0xbbad, -v87
	v_add_f16_e32 v37, v94, v37
	v_mul_f16_e32 v94, 0x3beb, v76
	v_mul_f16_e32 v76, 0x3853, v76
	v_add_f16_e32 v63, v63, v64
	v_add_f16_e32 v87, v87, v89
	v_mul_f16_e32 v64, 0xbbeb, v73
	v_fma_f16 v89, v67, 0xb08e, -v94
	v_add_f16_e32 v16, v95, v16
	v_add_f16_e32 v86, v86, v93
	v_fmamk_f16 v74, v67, 0xb08e, v94
	v_fmamk_f16 v93, v67, 0x3abb, v76
	v_fma_f16 v67, v67, 0x3abb, -v76
	v_add_f16_e32 v76, v89, v88
	v_fmamk_f16 v88, v63, 0xb08e, v64
	v_mul_f16_e32 v89, 0x3482, v73
	v_fma_f16 v64, v63, 0xb08e, -v64
	v_add_f16_e32 v17, v67, v17
	v_mul_f16_e32 v67, 0x3b47, v73
	v_add_f16_e32 v16, v88, v16
	v_fmamk_f16 v88, v63, 0xbbad, v89
	v_fma_f16 v89, v63, 0xbbad, -v89
	v_add_f16_e32 v64, v64, v75
	v_fmamk_f16 v75, v63, 0x36a6, v67
	v_fma_f16 v67, v63, 0x36a6, -v67
	v_sub_f16_e32 v68, v68, v69
	v_add_f16_e32 v37, v89, v37
	v_mul_f16_e32 v89, 0xb853, v73
	v_mul_f16_e32 v69, 0xba0c, v73
	v_add_f16_e32 v74, v74, v83
	v_add_f16_e32 v83, v93, v92
	v_add_f16_e32 v75, v75, v86
	v_add_f16_e32 v67, v67, v87
	v_fmamk_f16 v73, v63, 0x3abb, v89
	v_fma_f16 v86, v63, 0x3abb, -v89
	v_add_f16_e32 v59, v59, v61
	v_mul_f16_e32 v61, 0xba0c, v68
	v_fmamk_f16 v87, v63, 0xb93d, v69
	v_fma_f16 v63, v63, 0xb93d, -v69
	v_add_f16_e32 v73, v73, v74
	v_add_f16_e32 v74, v86, v76
	v_fmamk_f16 v69, v59, 0xb93d, v61
	v_add_f16_e32 v76, v87, v83
	v_fma_f16 v61, v59, 0xb93d, -v61
	v_mul_f16_e32 v83, 0x3beb, v68
	v_add_f16_e32 v17, v63, v17
	v_mul_f16_e32 v63, 0xb853, v68
	v_add_f16_e32 v16, v69, v16
	v_add_f16_e32 v61, v61, v64
	v_fmamk_f16 v64, v59, 0xb08e, v83
	v_fma_f16 v69, v59, 0xb08e, -v83
	v_mul_f16_e32 v83, 0xb482, v68
	v_fmamk_f16 v86, v59, 0x3abb, v63
	v_fma_f16 v63, v59, 0x3abb, -v63
	v_sub_f16_e32 v65, v65, v66
	v_add_f16_e32 v66, v5, v50
	v_add_f16_e32 v90, v96, v90
	;; [unrolled: 1-line block ×3, first 2 shown]
	v_fmamk_f16 v69, v59, 0xbbad, v83
	v_add_f16_e32 v63, v63, v67
	v_mul_f16_e32 v67, 0x3b47, v68
	v_fma_f16 v68, v59, 0xbbad, -v83
	v_add_f16_e32 v54, v54, v55
	v_mul_f16_e32 v55, 0xb482, v65
	v_add_f16_e32 v66, v66, v47
	v_add_f16_e32 v88, v88, v90
	;; [unrolled: 1-line block ×3, first 2 shown]
	v_fmamk_f16 v73, v59, 0x36a6, v67
	v_add_f16_e32 v68, v68, v74
	v_fma_f16 v59, v59, 0x36a6, -v67
	v_mul_f16_e32 v67, 0x3853, v65
	v_fmamk_f16 v74, v54, 0xbbad, v55
	v_add_f16_e32 v66, v66, v42
	v_add_f16_e32 v64, v64, v88
	v_fma_f16 v55, v54, 0xbbad, -v55
	v_add_f16_e32 v17, v59, v17
	v_fmamk_f16 v59, v54, 0x3abb, v67
	v_add_f16_e32 v74, v74, v16
	v_add_f16_e32 v16, v66, v38
	;; [unrolled: 1-line block ×5, first 2 shown]
	v_fma_f16 v59, v54, 0x3abb, -v67
	v_add_f16_e32 v16, v16, v35
	v_mul_f16_e32 v61, 0x3b47, v65
	v_add_f16_e32 v75, v86, v75
	v_mul_f16_e32 v55, 0xba0c, v65
	v_add_f16_e32 v86, v59, v37
	v_add_f16_e32 v16, v16, v36
	v_fmamk_f16 v37, v54, 0x36a6, v61
	v_fma_f16 v59, v54, 0x36a6, -v61
	v_fmamk_f16 v64, v54, 0xb93d, v55
	v_fma_f16 v55, v54, 0xb93d, -v55
	v_add_f16_e32 v16, v16, v41
	v_add_f16_e32 v88, v37, v69
	v_sub_f16_e32 v37, v60, v62
	v_add_f16_e32 v50, v50, v57
	v_add_f16_e32 v87, v55, v63
	v_mul_f16_e32 v55, 0xbbeb, v65
	v_add_f16_e32 v16, v16, v46
	v_mul_f16_e32 v61, 0xb853, v37
	;; [unrolled: 2-line block ×3, first 2 shown]
	v_fmamk_f16 v60, v54, 0xb08e, v55
	v_fma_f16 v54, v54, 0xb08e, -v55
	v_add_f16_e32 v16, v16, v52
	v_fmamk_f16 v55, v50, 0x3abb, v61
	v_sub_f16_e32 v56, v56, v58
	v_add_f16_e32 v73, v60, v73
	v_add_f16_e32 v90, v54, v17
	v_mul_f16_e32 v17, 0xbb47, v37
	v_fma_f16 v54, v50, 0x3abb, -v61
	v_add_f16_e32 v92, v16, v57
	v_add_f16_e32 v16, v5, v55
	v_mul_f16_e32 v55, 0xbbeb, v37
	v_fmamk_f16 v61, v50, 0xb93d, v59
	v_mul_f16_e32 v37, 0xb482, v37
	v_fma_f16 v59, v50, 0xb93d, -v59
	v_fmamk_f16 v57, v50, 0x36a6, v17
	v_fma_f16 v17, v50, 0x36a6, -v17
	v_add_f16_e32 v58, v5, v61
	v_fmamk_f16 v61, v50, 0xbbad, v37
	v_fmamk_f16 v60, v50, 0xb08e, v55
	v_fma_f16 v55, v50, 0xb08e, -v55
	v_add_f16_e32 v47, v47, v52
	v_fma_f16 v37, v50, 0xbbad, -v37
	v_add_f16_e32 v50, v5, v59
	v_add_f16_e32 v59, v5, v61
	v_mul_f16_e32 v61, 0xba0c, v56
	v_add_f16_e32 v17, v5, v17
	v_mul_f16_e32 v52, 0xbb47, v56
	v_add_f16_e32 v54, v5, v54
	v_add_f16_e32 v57, v5, v57
	v_fmamk_f16 v63, v47, 0xb93d, v61
	v_fma_f16 v61, v47, 0xb93d, -v61
	v_add_f16_e32 v60, v5, v60
	v_add_f16_e32 v55, v5, v55
	v_fmamk_f16 v62, v47, 0x36a6, v52
	v_add_f16_e32 v5, v5, v37
	v_fma_f16 v37, v47, 0x36a6, -v52
	v_mul_f16_e32 v52, 0x3482, v56
	v_add_f16_e32 v17, v61, v17
	v_mul_f16_e32 v61, 0x3beb, v56
	v_sub_f16_e32 v51, v51, v53
	v_add_f16_e32 v37, v37, v54
	v_fmamk_f16 v54, v47, 0xbbad, v52
	v_fma_f16 v52, v47, 0xbbad, -v52
	v_mul_f16_e32 v56, 0x3853, v56
	v_fmamk_f16 v53, v47, 0xb08e, v61
	v_add_f16_e32 v42, v42, v46
	v_mul_f16_e32 v46, 0xbbeb, v51
	v_add_f16_e32 v16, v62, v16
	v_add_f16_e32 v54, v54, v60
	;; [unrolled: 1-line block ×3, first 2 shown]
	v_fma_f16 v55, v47, 0xb08e, -v61
	v_fmamk_f16 v60, v47, 0x3abb, v56
	v_add_f16_e32 v53, v53, v58
	v_fma_f16 v47, v47, 0x3abb, -v56
	v_fmamk_f16 v56, v42, 0xb08e, v46
	v_mul_f16_e32 v58, 0x3482, v51
	v_add_f16_e32 v57, v63, v57
	v_fma_f16 v46, v42, 0xb08e, -v46
	v_add_f16_e32 v5, v47, v5
	v_add_f16_e32 v16, v56, v16
	v_fmamk_f16 v56, v42, 0xbbad, v58
	v_mul_f16_e32 v47, 0x3b47, v51
	v_sub_f16_e32 v48, v48, v49
	v_add_f16_e32 v37, v46, v37
	v_mul_f16_e32 v49, 0xba0c, v51
	v_add_f16_e32 v56, v56, v57
	v_mul_f16_e32 v57, 0xb853, v51
	v_fmamk_f16 v46, v42, 0x36a6, v47
	v_fma_f16 v47, v42, 0x36a6, -v47
	v_add_f16_e32 v38, v38, v41
	v_mul_f16_e32 v41, 0xba0c, v48
	v_fmamk_f16 v51, v42, 0x3abb, v57
	v_fma_f16 v58, v42, 0xbbad, -v58
	v_add_f16_e32 v46, v46, v54
	v_add_f16_e32 v47, v47, v52
	v_fma_f16 v52, v42, 0x3abb, -v57
	v_fmamk_f16 v54, v42, 0xb93d, v49
	v_add_f16_e32 v51, v51, v53
	v_fma_f16 v42, v42, 0xb93d, -v49
	v_fmamk_f16 v49, v38, 0xb93d, v41
	v_mul_f16_e32 v53, 0x3beb, v48
	v_fma_f16 v41, v38, 0xb93d, -v41
	v_add_f16_e32 v50, v55, v50
	v_add_f16_e32 v55, v60, v59
	v_add_f16_e32 v5, v42, v5
	v_add_f16_e32 v16, v49, v16
	v_mul_f16_e32 v42, 0xb853, v48
	v_fmamk_f16 v49, v38, 0xb08e, v53
	v_add_f16_e32 v37, v41, v37
	v_fma_f16 v41, v38, 0xb08e, -v53
	v_mul_f16_e32 v53, 0xb482, v48
	v_sub_f16_e32 v44, v44, v45
	v_add_f16_e32 v17, v58, v17
	v_add_f16_e32 v50, v52, v50
	;; [unrolled: 1-line block ×3, first 2 shown]
	v_fmamk_f16 v54, v38, 0x3abb, v42
	v_fma_f16 v42, v38, 0x3abb, -v42
	v_mul_f16_e32 v48, 0x3b47, v48
	v_fma_f16 v45, v38, 0xbbad, -v53
	v_add_f16_e32 v35, v35, v36
	v_mul_f16_e32 v36, 0xb482, v44
	v_add_f16_e32 v17, v41, v17
	v_fmamk_f16 v41, v38, 0xbbad, v53
	v_add_f16_e32 v42, v42, v47
	v_fmamk_f16 v47, v38, 0x36a6, v48
	v_fma_f16 v38, v38, 0x36a6, -v48
	v_add_f16_e32 v45, v45, v50
	v_mul_f16_e32 v48, 0x3853, v44
	v_fmamk_f16 v50, v35, 0xbbad, v36
	v_fma_f16 v36, v35, 0xbbad, -v36
	v_add_f16_e32 v5, v38, v5
	v_mul_f16_e32 v38, 0xba0c, v44
	v_add_f16_e32 v46, v54, v46
	v_add_f16_e32 v93, v50, v16
	v_fma_f16 v16, v35, 0x3abb, -v48
	v_add_f16_e32 v94, v36, v37
	v_fmamk_f16 v36, v35, 0xb93d, v38
	v_mul_f16_e32 v37, 0x3b47, v44
	v_add_f16_e32 v49, v49, v56
	v_add_f16_e32 v96, v16, v17
	v_mul_f16_e32 v16, 0xbbeb, v44
	v_add_f16_e32 v41, v41, v51
	v_add_f16_e32 v47, v47, v52
	v_fmamk_f16 v51, v35, 0x3abb, v48
	v_add_f16_e32 v97, v36, v46
	v_fma_f16 v17, v35, 0xb93d, -v38
	v_fmamk_f16 v36, v35, 0x36a6, v37
	v_fma_f16 v37, v35, 0x36a6, -v37
	v_fmamk_f16 v38, v35, 0xb08e, v16
	v_fma_f16 v16, v35, 0xb08e, -v16
	v_add_f16_e32 v75, v64, v75
	v_add_f16_e32 v95, v51, v49
	;; [unrolled: 1-line block ×7, first 2 shown]
	s_waitcnt lgkmcnt(0)
	s_barrier
	buffer_gl0_inv
	ds_read_u16 v51, v21 offset:1650
	ds_read_u16 v49, v21 offset:2420
	;; [unrolled: 1-line block ×6, first 2 shown]
	ds_read_u16 v38, v21
	ds_read_u16 v37, v21 offset:110
	ds_read_u16 v36, v21 offset:220
	;; [unrolled: 1-line block ×28, first 2 shown]
	s_waitcnt lgkmcnt(0)
	s_barrier
	buffer_gl0_inv
	ds_write_b16 v39, v91
	ds_write_b16 v39, v72 offset:14
	ds_write_b16 v39, v78 offset:28
	ds_write_b16 v39, v81 offset:42
	ds_write_b16 v39, v84 offset:56
	ds_write_b16 v39, v82 offset:70
	ds_write_b16 v39, v85 offset:84
	ds_write_b16 v39, v70 offset:98
	ds_write_b16 v39, v80 offset:112
	ds_write_b16 v39, v77 offset:126
	ds_write_b16 v39, v71 offset:140
	ds_write_b16 v40, v79
	ds_write_b16 v40, v74 offset:14
	ds_write_b16 v40, v83 offset:28
	ds_write_b16 v40, v75 offset:42
	ds_write_b16 v40, v88 offset:56
	ds_write_b16 v40, v73 offset:70
	ds_write_b16 v40, v90 offset:84
	ds_write_b16 v40, v89 offset:98
	ds_write_b16 v40, v87 offset:112
	ds_write_b16 v40, v86 offset:126
	ds_write_b16 v40, v76 offset:140
	;; [unrolled: 11-line block ×3, first 2 shown]
	s_and_saveexec_b32 s1, s0
	s_cbranch_execz .LBB0_19
; %bb.18:
	v_add_f16_e32 v39, v0, v30
	v_sub_f16_e32 v33, v33, v34
	v_add_f16_e32 v34, v26, v24
	v_add_f16_e32 v30, v30, v25
	v_sub_f16_e32 v31, v31, v32
	v_add_f16_e32 v26, v39, v26
	v_mul_f16_e32 v39, 0xbb47, v33
	v_mul_f16_e32 v40, 0xbbeb, v33
	;; [unrolled: 1-line block ×4, first 2 shown]
	v_add_f16_e32 v26, v26, v14
	v_fmamk_f16 v74, v30, 0x36a6, v39
	v_fma_f16 v39, v30, 0x36a6, -v39
	v_mul_f16_e32 v43, 0xba0c, v33
	v_mul_f16_e32 v33, 0xb482, v33
	v_add_f16_e32 v26, v26, v8
	v_mul_f16_e32 v72, 0x3482, v31
	v_fmamk_f16 v75, v30, 0xb08e, v40
	v_fma_f16 v40, v30, 0xb08e, -v40
	v_add_f16_e32 v39, v0, v39
	v_add_f16_e32 v26, v26, v6
	v_mul_f16_e32 v70, 0xbb47, v31
	v_fmamk_f16 v73, v30, 0x3abb, v32
	v_fmamk_f16 v76, v30, 0xb93d, v43
	v_fma_f16 v43, v30, 0xb93d, -v43
	v_add_f16_e32 v26, v26, v7
	v_fmamk_f16 v77, v30, 0xbbad, v33
	v_fmamk_f16 v78, v34, 0xb93d, v71
	v_add_f16_e32 v40, v0, v40
	v_sub_f16_e32 v27, v27, v29
	v_add_f16_e32 v26, v26, v9
	v_fma_f16 v32, v30, 0x3abb, -v32
	v_fma_f16 v30, v30, 0xbbad, -v33
	v_fmamk_f16 v33, v34, 0x36a6, v70
	v_add_f16_e32 v73, v0, v73
	v_add_f16_e32 v26, v26, v15
	;; [unrolled: 1-line block ×3, first 2 shown]
	v_mul_f16_e32 v15, 0xbbeb, v27
	v_fma_f16 v70, v34, 0x36a6, -v70
	v_add_f16_e32 v32, v0, v32
	v_add_f16_e32 v24, v26, v24
	;; [unrolled: 1-line block ×7, first 2 shown]
	v_fma_f16 v25, v34, 0xb93d, -v71
	v_fma_f16 v71, v34, 0xbbad, -v72
	v_add_f16_e32 v76, v0, v76
	v_add_f16_e32 v0, v0, v30
	;; [unrolled: 1-line block ×4, first 2 shown]
	v_mul_f16_e32 v39, 0x3beb, v31
	v_mul_f16_e32 v31, 0x3853, v31
	v_add_f16_e32 v40, v71, v40
	v_fmamk_f16 v33, v34, 0xbbad, v72
	v_add_f16_e32 v32, v70, v32
	v_fmamk_f16 v29, v34, 0xb08e, v39
	v_fma_f16 v39, v34, 0xb08e, -v39
	v_fmamk_f16 v71, v34, 0x3abb, v31
	v_fma_f16 v31, v34, 0x3abb, -v31
	v_add_f16_e32 v33, v33, v75
	v_sub_f16_e32 v18, v18, v19
	v_add_f16_e32 v26, v39, v26
	v_add_f16_e32 v34, v71, v43
	v_fmamk_f16 v39, v14, 0xb08e, v15
	v_mul_f16_e32 v43, 0x3482, v27
	v_add_f16_e32 v0, v31, v0
	v_fma_f16 v15, v14, 0xb08e, -v15
	v_mul_f16_e32 v31, 0x3b47, v27
	v_add_f16_e32 v30, v39, v30
	v_fmamk_f16 v39, v14, 0xbbad, v43
	v_fma_f16 v43, v14, 0xbbad, -v43
	v_add_f16_e32 v15, v15, v32
	v_fmamk_f16 v32, v14, 0x36a6, v31
	v_fma_f16 v31, v14, 0x36a6, -v31
	v_mul_f16_e32 v19, 0xba0c, v27
	v_add_f16_e32 v25, v43, v25
	v_mul_f16_e32 v43, 0xb853, v27
	v_add_f16_e32 v32, v32, v33
	v_add_f16_e32 v8, v8, v9
	v_mul_f16_e32 v9, 0xba0c, v18
	v_add_f16_e32 v70, v78, v74
	v_fma_f16 v33, v14, 0x3abb, -v43
	v_add_f16_e32 v31, v31, v40
	v_fmamk_f16 v27, v14, 0x3abb, v43
	v_fmamk_f16 v40, v14, 0xb93d, v19
	v_fma_f16 v14, v14, 0xb93d, -v19
	v_add_f16_e32 v26, v33, v26
	v_fmamk_f16 v19, v8, 0xb93d, v9
	v_mul_f16_e32 v33, 0x3beb, v18
	v_fma_f16 v9, v8, 0xb93d, -v9
	v_add_f16_e32 v29, v29, v76
	v_add_f16_e32 v39, v39, v70
	;; [unrolled: 1-line block ×4, first 2 shown]
	v_mul_f16_e32 v19, 0xb853, v18
	v_fmamk_f16 v30, v8, 0xb08e, v33
	v_add_f16_e32 v9, v9, v15
	v_mul_f16_e32 v15, 0xb482, v18
	v_mul_f16_e32 v18, 0x3b47, v18
	v_sub_f16_e32 v10, v10, v11
	v_add_f16_e32 v27, v27, v29
	v_add_f16_e32 v29, v40, v34
	v_fma_f16 v33, v8, 0xb08e, -v33
	v_fmamk_f16 v34, v8, 0x3abb, v19
	v_add_f16_e32 v30, v30, v39
	v_fma_f16 v19, v8, 0x3abb, -v19
	v_fmamk_f16 v39, v8, 0xbbad, v15
	v_fma_f16 v11, v8, 0xbbad, -v15
	v_fmamk_f16 v15, v8, 0x36a6, v18
	v_fma_f16 v8, v8, 0x36a6, -v18
	v_add_f16_e32 v6, v6, v7
	v_mul_f16_e32 v7, 0xb482, v10
	v_mul_f16_e32 v18, 0x3853, v10
	v_add_f16_e32 v25, v33, v25
	v_add_f16_e32 v11, v11, v26
	v_add_f16_e32 v15, v15, v29
	v_add_f16_e32 v0, v8, v0
	v_fmamk_f16 v8, v6, 0xbbad, v7
	v_mul_f16_e32 v26, 0xba0c, v10
	v_fma_f16 v7, v6, 0xbbad, -v7
	v_fmamk_f16 v29, v6, 0x3abb, v18
	v_fma_f16 v18, v6, 0x3abb, -v18
	v_add_f16_e32 v8, v8, v14
	v_fmamk_f16 v14, v6, 0xb93d, v26
	v_add_f16_e32 v7, v7, v9
	v_add_f16_e32 v9, v29, v30
	;; [unrolled: 1-line block ×3, first 2 shown]
	v_fma_f16 v25, v6, 0xb93d, -v26
	v_mov_b32_e32 v26, 0x9a
	v_mov_b32_e32 v29, 1
	v_add_f16_e32 v19, v19, v31
	v_mul_f16_e32 v30, 0x3b47, v10
	v_mul_f16_e32 v10, 0xbbeb, v10
	v_mul_u32_u24_sdwa v3, v3, v26 dst_sel:DWORD dst_unused:UNUSED_PAD src0_sel:WORD_0 src1_sel:DWORD
	v_lshlrev_b32_sdwa v4, v29, v4 dst_sel:DWORD dst_unused:UNUSED_PAD src0_sel:DWORD src1_sel:BYTE_0
	v_add_f16_e32 v32, v34, v32
	v_add_f16_e32 v27, v39, v27
	;; [unrolled: 1-line block ×3, first 2 shown]
	v_fmamk_f16 v25, v6, 0x36a6, v30
	v_fma_f16 v26, v6, 0x36a6, -v30
	v_fmamk_f16 v29, v6, 0xb08e, v10
	v_fma_f16 v6, v6, 0xb08e, -v10
	v_add3_u32 v3, 0, v3, v4
	v_add_f16_e32 v14, v14, v32
	v_add_f16_e32 v4, v25, v27
	;; [unrolled: 1-line block ×5, first 2 shown]
	ds_write_b16 v3, v24
	ds_write_b16 v3, v8 offset:14
	ds_write_b16 v3, v9 offset:28
	;; [unrolled: 1-line block ×10, first 2 shown]
.LBB0_19:
	s_or_b32 exec_lo, exec_lo, s1
	v_lshlrev_b32_e32 v24, 2, v20
	v_mov_b32_e32 v25, 0
	v_mul_lo_u16 v0, 0xd5, v1
	v_mov_b32_e32 v8, 4
	s_waitcnt lgkmcnt(0)
	s_barrier
	v_lshlrev_b64 v[3:4], 2, v[24:25]
	v_lshrrev_b16 v1, 14, v0
	v_subrev_nc_u32_e32 v0, 22, v20
	buffer_gl0_inv
	v_add_nc_u32_e32 v29, 0xdc, v20
	v_add_nc_u32_e32 v30, 0x14a, v20
	v_add_co_u32 v26, s0, s8, v3
	v_add_co_ci_u32_e64 v27, s0, s9, v4, s0
	v_cmp_gt_u32_e64 s0, 22, v20
	v_mul_lo_u16 v3, 0x4d, v1
	global_load_dwordx4 v[70:73], v[26:27], off offset:280
	v_cndmask_b32_e64 v10, v0, v28, s0
	v_sub_nc_u16 v4, v12, v3
	v_lshlrev_b32_e32 v24, 2, v10
	v_lshlrev_b32_sdwa v0, v8, v4 dst_sel:DWORD dst_unused:UNUSED_PAD src0_sel:DWORD src1_sel:BYTE_0
	v_lshlrev_b32_e32 v10, 1, v10
	v_lshlrev_b64 v[6:7], 2, v[24:25]
	global_load_dwordx4 v[74:77], v0, s[8:9] offset:280
	v_add_co_u32 v6, s0, s8, v6
	v_add_co_ci_u32_e64 v7, s0, s9, v7, s0
	v_cmp_lt_u32_e64 s0, 21, v20
	global_load_dwordx4 v[80:83], v[6:7], off offset:280
	v_mul_lo_u16 v0, 0xd5, v2
	v_mov_b32_e32 v2, 0x1a99
	v_lshrrev_b16 v0, 14, v0
	v_mul_u32_u24_sdwa v3, v29, v2 dst_sel:DWORD dst_unused:UNUSED_PAD src0_sel:WORD_0 src1_sel:DWORD
	v_mul_lo_u16 v0, 0x4d, v0
	v_lshrrev_b32_e32 v14, 19, v3
	v_sub_nc_u16 v6, v13, v0
	v_add_nc_u32_e32 v0, 0x113, v20
	v_and_b32_e32 v15, 0xff, v6
	v_mul_u32_u24_sdwa v3, v0, v2 dst_sel:DWORD dst_unused:UNUSED_PAD src0_sel:WORD_0 src1_sel:DWORD
	v_mul_u32_u24_sdwa v2, v30, v2 dst_sel:DWORD dst_unused:UNUSED_PAD src0_sel:WORD_0 src1_sel:DWORD
	v_mul_lo_u16 v6, 0x4d, v14
	v_mul_u32_u24_e32 v14, 0x302, v14
	v_lshlrev_b32_e32 v7, 4, v15
	v_lshrrev_b32_e32 v18, 19, v3
	v_lshrrev_b32_e32 v2, 19, v2
	v_sub_nc_u16 v24, v29, v6
	global_load_dwordx4 v[84:87], v7, s[8:9] offset:280
	v_mul_lo_u16 v3, 0x4d, v18
	v_mul_lo_u16 v2, 0x4d, v2
	v_lshlrev_b32_sdwa v6, v8, v24 dst_sel:DWORD dst_unused:UNUSED_PAD src0_sel:DWORD src1_sel:WORD_0
	v_sub_nc_u16 v19, v0, v3
	v_sub_nc_u16 v2, v30, v2
	global_load_dwordx4 v[88:91], v6, s[8:9] offset:280
	v_lshlrev_b32_sdwa v3, v8, v19 dst_sel:DWORD dst_unused:UNUSED_PAD src0_sel:DWORD src1_sel:WORD_0
	v_and_b32_e32 v31, 0xffff, v2
	global_load_dwordx4 v[92:95], v3, s[8:9] offset:280
	v_lshlrev_b32_e32 v2, 4, v31
	global_load_dwordx4 v[96:99], v2, s[8:9] offset:280
	ds_read_u16 v32, v21 offset:770
	ds_read_u16 v33, v21 offset:1540
	;; [unrolled: 1-line block ×10, first 2 shown]
	ds_read_u16 v11, v21
	ds_read_u16 v9, v21 offset:110
	ds_read_u16 v8, v21 offset:220
	;; [unrolled: 1-line block ×24, first 2 shown]
	s_waitcnt vmcnt(0) lgkmcnt(0)
	s_barrier
	buffer_gl0_inv
	v_mul_f16_sdwa v120, v32, v70 dst_sel:DWORD dst_unused:UNUSED_PAD src0_sel:DWORD src1_sel:WORD_1
	v_mul_f16_sdwa v121, v66, v70 dst_sel:DWORD dst_unused:UNUSED_PAD src0_sel:DWORD src1_sel:WORD_1
	;; [unrolled: 1-line block ×8, first 2 shown]
	v_fma_f16 v66, v66, v70, -v120
	v_fmac_f16_e32 v121, v32, v70
	v_fma_f16 v32, v67, v71, -v122
	v_fmac_f16_e32 v123, v33, v71
	;; [unrolled: 2-line block ×4, first 2 shown]
	v_mul_f16_sdwa v33, v103, v74 dst_sel:DWORD dst_unused:UNUSED_PAD src0_sel:DWORD src1_sel:WORD_1
	v_mul_f16_sdwa v68, v64, v74 dst_sel:DWORD dst_unused:UNUSED_PAD src0_sel:DWORD src1_sel:WORD_1
	;; [unrolled: 1-line block ×8, first 2 shown]
	v_add_f16_e32 v133, v38, v66
	v_mul_f16_sdwa v122, v102, v80 dst_sel:DWORD dst_unused:UNUSED_PAD src0_sel:DWORD src1_sel:WORD_1
	v_mul_f16_sdwa v124, v54, v80 dst_sel:DWORD dst_unused:UNUSED_PAD src0_sel:DWORD src1_sel:WORD_1
	;; [unrolled: 1-line block ×7, first 2 shown]
	v_add_f16_e32 v134, v32, v67
	v_add_f16_e32 v142, v11, v121
	v_fma_f16 v150, v64, v74, -v33
	v_fmac_f16_e32 v68, v103, v74
	v_fma_f16 v74, v65, v75, -v39
	v_fmac_f16_e32 v69, v107, v75
	;; [unrolled: 2-line block ×5, first 2 shown]
	v_mul_f16_sdwa v132, v52, v83 dst_sel:DWORD dst_unused:UNUSED_PAD src0_sel:DWORD src1_sel:WORD_1
	v_sub_f16_e32 v135, v121, v127
	v_sub_f16_e32 v136, v123, v125
	;; [unrolled: 1-line block ×4, first 2 shown]
	v_add_f16_e32 v139, v66, v70
	v_sub_f16_e32 v140, v32, v66
	v_add_f16_e32 v143, v123, v125
	v_sub_f16_e32 v144, v66, v70
	v_sub_f16_e32 v145, v32, v67
	;; [unrolled: 1-line block ×3, first 2 shown]
	v_add_f16_e32 v148, v121, v127
	v_mul_f16_sdwa v33, v104, v84 dst_sel:DWORD dst_unused:UNUSED_PAD src0_sel:DWORD src1_sel:WORD_1
	v_mul_f16_sdwa v103, v58, v84 dst_sel:DWORD dst_unused:UNUSED_PAD src0_sel:DWORD src1_sel:WORD_1
	;; [unrolled: 1-line block ×11, first 2 shown]
	v_sub_f16_e32 v121, v123, v121
	v_mul_f16_sdwa v65, v53, v88 dst_sel:DWORD dst_unused:UNUSED_PAD src0_sel:DWORD src1_sel:WORD_1
	v_mul_f16_sdwa v153, v109, v89 dst_sel:DWORD dst_unused:UNUSED_PAD src0_sel:DWORD src1_sel:WORD_1
	;; [unrolled: 1-line block ×3, first 2 shown]
	v_fma_f16 v80, v51, v81, -v126
	v_mul_f16_sdwa v156, v106, v92 dst_sel:DWORD dst_unused:UNUSED_PAD src0_sel:DWORD src1_sel:WORD_1
	v_mul_f16_sdwa v43, v47, v92 dst_sel:DWORD dst_unused:UNUSED_PAD src0_sel:DWORD src1_sel:WORD_1
	;; [unrolled: 1-line block ×8, first 2 shown]
	v_fmac_f16_e32 v128, v34, v81
	v_fma_f16 v81, v49, v82, -v129
	v_fmac_f16_e32 v130, v40, v82
	v_fma_f16 v82, v52, v83, -v131
	v_add_f16_e32 v49, v133, v32
	v_fma_f16 v32, -0.5, v134, v38
	v_add_f16_e32 v52, v142, v123
	v_fma_f16 v123, v58, v84, -v33
	v_fmac_f16_e32 v103, v104, v84
	v_fma_f16 v59, v59, v85, -v39
	v_fmac_f16_e32 v107, v108, v85
	;; [unrolled: 2-line block ×4, first 2 shown]
	v_fma_f16 v85, v53, v88, -v77
	v_fma_f16 v87, v56, v90, -v154
	v_fmac_f16_e32 v78, v112, v90
	v_fma_f16 v51, v47, v92, -v156
	v_fmac_f16_e32 v43, v106, v92
	;; [unrolled: 2-line block ×4, first 2 shown]
	v_fma_f16 v50, v57, v95, -v159
	v_mul_f16_sdwa v53, v114, v96 dst_sel:DWORD dst_unused:UNUSED_PAD src0_sel:DWORD src1_sel:WORD_1
	v_mul_f16_sdwa v34, v41, v96 dst_sel:DWORD dst_unused:UNUSED_PAD src0_sel:DWORD src1_sel:WORD_1
	;; [unrolled: 1-line block ×5, first 2 shown]
	v_add_f16_e32 v71, v74, v75
	v_add_f16_e32 v90, v150, v76
	;; [unrolled: 1-line block ×7, first 2 shown]
	v_mul_f16_sdwa v155, v117, v91 dst_sel:DWORD dst_unused:UNUSED_PAD src0_sel:DWORD src1_sel:WORD_1
	v_mul_f16_sdwa v79, v61, v91 dst_sel:DWORD dst_unused:UNUSED_PAD src0_sel:DWORD src1_sel:WORD_1
	v_fmac_f16_e32 v132, v100, v83
	v_add_f16_e32 v83, v137, v138
	v_fmac_f16_e32 v65, v105, v88
	v_fma_f16 v86, v55, v89, -v153
	v_fmac_f16_e32 v66, v109, v89
	v_fmac_f16_e32 v64, v118, v95
	v_mul_f16_sdwa v55, v115, v97 dst_sel:DWORD dst_unused:UNUSED_PAD src0_sel:DWORD src1_sel:WORD_1
	v_add_f16_e32 v58, v36, v150
	v_sub_f16_e32 v77, v68, v120
	v_sub_f16_e32 v88, v69, v72
	v_sub_f16_e32 v73, v150, v74
	v_sub_f16_e32 v89, v76, v75
	v_sub_f16_e32 v95, v150, v76
	v_sub_f16_e32 v101, v74, v75
	v_sub_f16_e32 v104, v68, v69
	v_sub_f16_e32 v108, v69, v68
	v_add_f16_e32 v110, v49, v67
	v_fmamk_f16 v49, v135, 0x3b9c, v32
	v_fmac_f16_e32 v32, 0xbb9c, v135
	v_add_f16_e32 v52, v52, v125
	v_add_f16_e32 v112, v80, v81
	v_sub_f16_e32 v118, v122, v80
	v_sub_f16_e32 v129, v80, v122
	;; [unrolled: 1-line block ×3, first 2 shown]
	v_fma_f16 v142, v41, v96, -v53
	v_fmac_f16_e32 v34, v114, v96
	v_fma_f16 v56, v44, v98, -v56
	v_fmac_f16_e32 v40, v116, v98
	v_fma_f16 v96, v45, v99, -v57
	v_fma_f16 v41, -0.5, v71, v36
	v_fmac_f16_e32 v36, -0.5, v90
	v_add_f16_e32 v57, v93, v69
	v_fma_f16 v69, -0.5, v94, v8
	v_fmac_f16_e32 v8, -0.5, v106
	v_add_f16_e32 v80, v111, v80
	v_add_f16_e32 v98, v133, v128
	v_sub_f16_e32 v141, v67, v70
	v_sub_f16_e32 v147, v127, v125
	;; [unrolled: 1-line block ×3, first 2 shown]
	v_fma_f16 v61, v61, v91, -v155
	v_fmac_f16_e32 v79, v117, v91
	v_mul_f16_sdwa v39, v42, v97 dst_sel:DWORD dst_unused:UNUSED_PAD src0_sel:DWORD src1_sel:WORD_1
	v_mul_f16_sdwa v33, v45, v99 dst_sel:DWORD dst_unused:UNUSED_PAD src0_sel:DWORD src1_sel:WORD_1
	v_sub_f16_e32 v91, v74, v150
	v_sub_f16_e32 v92, v75, v76
	;; [unrolled: 1-line block ×6, first 2 shown]
	v_fma_f16 v55, v42, v97, -v55
	v_add_f16_e32 v42, v58, v74
	v_add_f16_e32 v89, v73, v89
	;; [unrolled: 1-line block ×4, first 2 shown]
	v_fmac_f16_e32 v49, 0x38b4, v136
	v_fmac_f16_e32 v32, 0xb8b4, v136
	v_add_f16_e32 v70, v52, v127
	v_fmamk_f16 v52, v77, 0x3b9c, v41
	v_fmac_f16_e32 v41, 0xbb9c, v77
	v_fmamk_f16 v53, v88, 0xbb9c, v36
	v_fmac_f16_e32 v36, 0x3b9c, v88
	v_add_f16_e32 v57, v57, v72
	v_fmamk_f16 v72, v95, 0xbb9c, v69
	v_fmac_f16_e32 v69, 0x3b9c, v95
	v_fmamk_f16 v73, v101, 0x3b9c, v8
	v_fmac_f16_e32 v8, 0xbb9c, v101
	v_add_f16_e32 v80, v80, v81
	v_add_f16_e32 v81, v98, v130
	v_fmac_f16_e32 v38, -0.5, v139
	v_add_f16_e32 v126, v122, v82
	v_sub_f16_e32 v122, v122, v82
	v_add_f16_e32 v90, v91, v92
	v_add_f16_e32 v91, v104, v105
	;; [unrolled: 1-line block ×4, first 2 shown]
	v_sub_f16_e32 v93, v103, v152
	v_add_f16_e32 v105, v42, v75
	v_fma_f16 v42, -0.5, v74, v17
	v_fmac_f16_e32 v49, 0x34f2, v83
	v_fmac_f16_e32 v32, 0x34f2, v83
	;; [unrolled: 1-line block ×9, first 2 shown]
	v_add_f16_e32 v88, v80, v82
	v_add_f16_e32 v77, v81, v132
	v_sub_f16_e32 v81, v123, v59
	v_sub_f16_e32 v82, v84, v60
	v_add_f16_e32 v83, v123, v84
	v_fmac_f16_e32 v8, 0x38b4, v95
	v_fmamk_f16 v48, v136, 0xbb9c, v38
	v_fmac_f16_e32 v38, 0x3b9c, v136
	v_add_f16_e32 v134, v128, v130
	v_add_f16_e32 v106, v58, v59
	;; [unrolled: 1-line block ×4, first 2 shown]
	v_fmamk_f16 v57, v93, 0x3b9c, v42
	v_fmac_f16_e32 v72, 0x34f2, v91
	v_fmac_f16_e32 v69, 0x34f2, v91
	;; [unrolled: 1-line block ×3, first 2 shown]
	v_sub_f16_e32 v80, v107, v151
	v_add_f16_e32 v81, v81, v82
	v_fmac_f16_e32 v17, -0.5, v83
	v_fmac_f16_e32 v8, 0x34f2, v92
	v_fmac_f16_e32 v42, 0xbb9c, v93
	v_sub_f16_e32 v82, v59, v123
	v_sub_f16_e32 v83, v60, v84
	v_add_f16_e32 v91, v6, v103
	v_add_f16_e32 v92, v107, v151
	;; [unrolled: 1-line block ×3, first 2 shown]
	v_sub_f16_e32 v113, v124, v132
	v_sub_f16_e32 v117, v128, v130
	v_fmac_f16_e32 v48, 0x38b4, v135
	v_fmac_f16_e32 v38, 0xb8b4, v135
	v_fma_f16 v44, -0.5, v112, v37
	v_fmac_f16_e32 v37, -0.5, v126
	v_fma_f16 v71, -0.5, v134, v9
	v_fmac_f16_e32 v52, 0x34f2, v89
	v_fmac_f16_e32 v41, 0x34f2, v89
	;; [unrolled: 1-line block ×4, first 2 shown]
	v_add_f16_e32 v89, v106, v60
	v_fmac_f16_e32 v57, 0x38b4, v80
	v_fmamk_f16 v90, v80, 0xbb9c, v17
	v_fmac_f16_e32 v42, 0xb8b4, v80
	v_add_f16_e32 v82, v82, v83
	v_fmac_f16_e32 v17, 0x3b9c, v80
	v_add_f16_e32 v83, v91, v107
	v_fma_f16 v80, -0.5, v92, v6
	v_add_f16_e32 v91, v103, v152
	v_sub_f16_e32 v59, v59, v60
	v_sub_f16_e32 v60, v103, v107
	;; [unrolled: 1-line block ×5, first 2 shown]
	v_fmac_f16_e32 v48, 0x34f2, v100
	v_fmac_f16_e32 v38, 0x34f2, v100
	v_fmamk_f16 v58, v113, 0x3b9c, v44
	v_fmac_f16_e32 v44, 0xbb9c, v113
	v_fmamk_f16 v100, v117, 0xbb9c, v37
	;; [unrolled: 2-line block ×3, first 2 shown]
	v_fmac_f16_e32 v71, 0x3b9c, v122
	v_add_f16_e32 v89, v89, v84
	v_sub_f16_e32 v84, v123, v84
	v_fmac_f16_e32 v6, -0.5, v91
	v_add_f16_e32 v60, v60, v92
	v_sub_f16_e32 v91, v107, v103
	v_sub_f16_e32 v92, v151, v152
	v_fmac_f16_e32 v39, v115, v97
	v_fmac_f16_e32 v33, v119, v99
	v_add_f16_e32 v94, v118, v125
	v_add_f16_e32 v97, v129, v131
	;; [unrolled: 1-line block ×3, first 2 shown]
	v_fmac_f16_e32 v58, 0x38b4, v117
	v_fmac_f16_e32 v44, 0xb8b4, v117
	v_fmac_f16_e32 v100, 0x38b4, v113
	v_fmac_f16_e32 v37, 0xb8b4, v113
	v_fmac_f16_e32 v74, 0xb8b4, v137
	v_fmac_f16_e32 v71, 0x38b4, v137
	v_fmac_f16_e32 v57, 0x34f2, v81
	v_fmac_f16_e32 v90, 0x38b4, v93
	v_fmac_f16_e32 v42, 0x34f2, v81
	v_fmac_f16_e32 v17, 0xb8b4, v93
	v_add_f16_e32 v83, v83, v151
	v_fmamk_f16 v81, v84, 0xbb9c, v80
	v_fmac_f16_e32 v80, 0x3b9c, v84
	v_add_f16_e32 v93, v86, v87
	v_add_f16_e32 v91, v91, v92
	;; [unrolled: 1-line block ×3, first 2 shown]
	v_fmac_f16_e32 v58, 0x34f2, v94
	v_fmac_f16_e32 v44, 0x34f2, v94
	v_fmac_f16_e32 v100, 0x34f2, v97
	v_fmac_f16_e32 v37, 0x34f2, v97
	v_fmac_f16_e32 v74, 0x34f2, v99
	v_fmac_f16_e32 v71, 0x34f2, v99
	v_fmac_f16_e32 v90, 0x34f2, v82
	v_fmac_f16_e32 v17, 0x34f2, v82
	v_add_f16_e32 v82, v83, v152
	v_fmac_f16_e32 v81, 0xb8b4, v59
	v_fmamk_f16 v83, v59, 0x3b9c, v6
	v_fmac_f16_e32 v80, 0x38b4, v59
	v_fma_f16 v93, -0.5, v93, v16
	v_sub_f16_e32 v94, v65, v79
	v_fmac_f16_e32 v6, 0xbb9c, v59
	v_add_f16_e32 v59, v92, v86
	v_sub_f16_e32 v95, v85, v86
	v_sub_f16_e32 v97, v61, v87
	v_add_f16_e32 v99, v85, v61
	v_fmac_f16_e32 v81, 0x34f2, v60
	v_fmac_f16_e32 v83, 0xb8b4, v84
	;; [unrolled: 1-line block ×3, first 2 shown]
	v_fmamk_f16 v60, v94, 0x3b9c, v93
	v_sub_f16_e32 v92, v66, v78
	v_fmac_f16_e32 v6, 0x38b4, v84
	v_add_f16_e32 v59, v59, v87
	v_add_f16_e32 v84, v95, v97
	v_fmac_f16_e32 v16, -0.5, v99
	v_fmac_f16_e32 v93, 0xbb9c, v94
	v_sub_f16_e32 v95, v86, v85
	v_sub_f16_e32 v97, v87, v61
	v_add_f16_e32 v99, v3, v65
	v_add_f16_e32 v101, v66, v78
	v_fmac_f16_e32 v83, 0x34f2, v91
	v_fmac_f16_e32 v60, 0x38b4, v92
	;; [unrolled: 1-line block ×3, first 2 shown]
	v_add_f16_e32 v59, v59, v61
	v_fmamk_f16 v91, v92, 0xbb9c, v16
	v_fmac_f16_e32 v93, 0xb8b4, v92
	v_add_f16_e32 v95, v95, v97
	v_fmac_f16_e32 v16, 0x3b9c, v92
	v_add_f16_e32 v92, v99, v66
	v_fma_f16 v97, -0.5, v101, v3
	v_sub_f16_e32 v61, v85, v61
	v_fmac_f16_e32 v60, 0x34f2, v84
	v_fmac_f16_e32 v91, 0x38b4, v94
	;; [unrolled: 1-line block ×4, first 2 shown]
	v_add_f16_e32 v84, v92, v78
	v_fmamk_f16 v85, v61, 0xbb9c, v97
	v_add_f16_e32 v92, v65, v79
	v_sub_f16_e32 v86, v86, v87
	v_sub_f16_e32 v87, v65, v66
	;; [unrolled: 1-line block ×3, first 2 shown]
	v_fmac_f16_e32 v97, 0x3b9c, v61
	v_sub_f16_e32 v65, v66, v65
	v_sub_f16_e32 v66, v78, v79
	v_add_f16_e32 v78, v46, v47
	v_fmac_f16_e32 v3, -0.5, v92
	v_add_f16_e32 v84, v84, v79
	v_fmac_f16_e32 v85, 0xb8b4, v86
	v_add_f16_e32 v87, v87, v94
	v_fmac_f16_e32 v97, 0x38b4, v86
	v_add_f16_e32 v65, v65, v66
	v_add_f16_e32 v66, v5, v51
	v_fma_f16 v78, -0.5, v78, v5
	v_sub_f16_e32 v79, v43, v64
	v_fmac_f16_e32 v91, 0x34f2, v95
	v_fmac_f16_e32 v16, 0x34f2, v95
	v_fmamk_f16 v92, v86, 0x3b9c, v3
	v_fmac_f16_e32 v85, 0x34f2, v87
	v_fmac_f16_e32 v97, 0x34f2, v87
	;; [unrolled: 1-line block ×3, first 2 shown]
	v_add_f16_e32 v66, v66, v46
	v_fmamk_f16 v86, v79, 0x3b9c, v78
	v_sub_f16_e32 v87, v62, v63
	v_sub_f16_e32 v94, v51, v46
	;; [unrolled: 1-line block ×3, first 2 shown]
	v_add_f16_e32 v99, v51, v50
	v_fmac_f16_e32 v78, 0xbb9c, v79
	v_fmac_f16_e32 v92, 0xb8b4, v61
	;; [unrolled: 1-line block ×3, first 2 shown]
	v_add_f16_e32 v61, v66, v47
	v_fmac_f16_e32 v86, 0x38b4, v87
	v_add_f16_e32 v66, v94, v95
	v_fmac_f16_e32 v5, -0.5, v99
	v_sub_f16_e32 v94, v46, v51
	v_sub_f16_e32 v95, v47, v50
	v_fmac_f16_e32 v78, 0xb8b4, v87
	v_add_f16_e32 v99, v2, v43
	v_add_f16_e32 v101, v62, v63
	v_fmac_f16_e32 v92, 0x34f2, v65
	v_fmac_f16_e32 v3, 0x34f2, v65
	v_add_f16_e32 v61, v61, v50
	v_fmac_f16_e32 v86, 0x34f2, v66
	v_fmamk_f16 v65, v87, 0xbb9c, v5
	v_add_f16_e32 v94, v94, v95
	v_fmac_f16_e32 v5, 0x3b9c, v87
	v_add_f16_e32 v87, v99, v62
	v_fma_f16 v95, -0.5, v101, v2
	v_sub_f16_e32 v50, v51, v50
	v_fmac_f16_e32 v78, 0x34f2, v66
	v_add_f16_e32 v66, v43, v64
	v_fmac_f16_e32 v65, 0x38b4, v79
	v_fmac_f16_e32 v5, 0xb8b4, v79
	v_add_f16_e32 v51, v87, v63
	v_fmamk_f16 v79, v50, 0xbb9c, v95
	v_sub_f16_e32 v46, v46, v47
	v_sub_f16_e32 v47, v43, v62
	;; [unrolled: 1-line block ×3, first 2 shown]
	v_fmac_f16_e32 v2, -0.5, v66
	v_fmac_f16_e32 v95, 0x3b9c, v50
	v_fmac_f16_e32 v65, 0x34f2, v94
	;; [unrolled: 1-line block ×3, first 2 shown]
	v_add_f16_e32 v94, v51, v64
	v_fmac_f16_e32 v79, 0xb8b4, v46
	v_add_f16_e32 v47, v47, v87
	v_fmamk_f16 v87, v46, 0x3b9c, v2
	v_sub_f16_e32 v43, v62, v43
	v_sub_f16_e32 v51, v63, v64
	v_fmac_f16_e32 v95, 0x38b4, v46
	v_add_f16_e32 v62, v55, v56
	v_fmac_f16_e32 v2, 0xbb9c, v46
	v_add_f16_e32 v46, v35, v142
	v_add_f16_e32 v43, v43, v51
	;; [unrolled: 1-line block ×3, first 2 shown]
	v_fma_f16 v51, -0.5, v62, v35
	v_sub_f16_e32 v62, v34, v33
	v_add_f16_e32 v46, v46, v55
	v_fmac_f16_e32 v79, 0x34f2, v47
	v_fmac_f16_e32 v87, 0xb8b4, v50
	;; [unrolled: 1-line block ×4, first 2 shown]
	v_fmamk_f16 v47, v62, 0x3b9c, v51
	v_sub_f16_e32 v50, v39, v40
	v_sub_f16_e32 v63, v142, v55
	;; [unrolled: 1-line block ×3, first 2 shown]
	v_fmac_f16_e32 v51, 0xbb9c, v62
	v_add_f16_e32 v46, v46, v56
	v_fmac_f16_e32 v35, -0.5, v66
	v_fmac_f16_e32 v87, 0x34f2, v43
	v_fmac_f16_e32 v47, 0x38b4, v50
	v_add_f16_e32 v63, v63, v64
	v_fmac_f16_e32 v51, 0xb8b4, v50
	v_fmac_f16_e32 v2, 0x34f2, v43
	v_add_f16_e32 v43, v46, v96
	v_fmamk_f16 v46, v50, 0xbb9c, v35
	v_fmac_f16_e32 v35, 0x3b9c, v50
	v_fmac_f16_e32 v47, 0x34f2, v63
	;; [unrolled: 1-line block ×3, first 2 shown]
	v_add_f16_e32 v63, v39, v40
	v_fmac_f16_e32 v46, 0x38b4, v62
	v_fmac_f16_e32 v35, 0xb8b4, v62
	v_add_f16_e32 v62, v34, v33
	v_sub_f16_e32 v64, v55, v142
	v_add_f16_e32 v50, v7, v34
	v_fma_f16 v99, -0.5, v63, v7
	v_sub_f16_e32 v55, v55, v56
	v_fmac_f16_e32 v7, -0.5, v62
	v_sub_f16_e32 v66, v56, v96
	v_sub_f16_e32 v63, v142, v96
	v_add_f16_e32 v50, v50, v39
	v_sub_f16_e32 v56, v34, v39
	v_fmamk_f16 v101, v55, 0x3b9c, v7
	v_sub_f16_e32 v34, v39, v34
	v_sub_f16_e32 v39, v40, v33
	v_fmac_f16_e32 v7, 0xbb9c, v55
	v_fma_f16 v54, -0.5, v143, v11
	v_fmac_f16_e32 v101, 0xb8b4, v63
	v_add_f16_e32 v102, v146, v147
	v_add_f16_e32 v34, v34, v39
	v_fmac_f16_e32 v7, 0x38b4, v63
	v_mov_b32_e32 v39, 1
	v_fmamk_f16 v67, v144, 0xbb9c, v54
	v_fmac_f16_e32 v54, 0x3b9c, v144
	v_fmac_f16_e32 v101, 0x34f2, v34
	;; [unrolled: 1-line block ×3, first 2 shown]
	v_mov_b32_e32 v34, 0x302
	v_lshlrev_b32_sdwa v4, v39, v4 dst_sel:DWORD dst_unused:UNUSED_PAD src0_sel:DWORD src1_sel:BYTE_0
	v_fmac_f16_e32 v67, 0xb8b4, v145
	v_fmac_f16_e32 v54, 0x38b4, v145
	v_add_f16_e32 v50, v50, v40
	v_mul_u32_u24_sdwa v1, v1, v34 dst_sel:DWORD dst_unused:UNUSED_PAD src0_sel:WORD_0 src1_sel:DWORD
	v_sub_f16_e32 v62, v33, v40
	v_fmac_f16_e32 v67, 0x34f2, v102
	v_fmac_f16_e32 v54, 0x34f2, v102
	v_add_f16_e32 v102, v50, v33
	v_add3_u32 v1, 0, v1, v4
	v_lshl_add_u32 v4, v15, 1, 0
	v_lshlrev_b32_sdwa v15, v39, v24 dst_sel:DWORD dst_unused:UNUSED_PAD src0_sel:DWORD src1_sel:WORD_0
	v_cndmask_b32_e64 v33, 0, 0x302, s0
	v_fmamk_f16 v96, v63, 0xbb9c, v99
	v_fmac_f16_e32 v99, 0x3b9c, v63
	v_add_f16_e32 v64, v64, v66
	v_add3_u32 v14, 0, v14, v15
	v_mul_u32_u24_e32 v15, 0x302, v18
	v_lshlrev_b32_sdwa v18, v39, v19 dst_sel:DWORD dst_unused:UNUSED_PAD src0_sel:DWORD src1_sel:WORD_0
	v_add3_u32 v10, 0, v33, v10
	v_fmac_f16_e32 v96, 0xb8b4, v55
	v_add_f16_e32 v40, v56, v62
	v_fmac_f16_e32 v99, 0x38b4, v55
	v_add3_u32 v15, 0, v15, v18
	v_fmac_f16_e32 v46, 0x34f2, v64
	v_fmac_f16_e32 v35, 0x34f2, v64
	ds_write_b16 v21, v45
	ds_write_b16 v21, v49 offset:154
	ds_write_b16 v21, v48 offset:308
	ds_write_b16 v21, v38 offset:462
	ds_write_b16 v21, v32 offset:616
	ds_write_b16 v10, v88
	ds_write_b16 v10, v58 offset:154
	ds_write_b16 v10, v100 offset:308
	ds_write_b16 v10, v37 offset:462
	ds_write_b16 v10, v44 offset:616
	;; [unrolled: 5-line block ×3, first 2 shown]
	ds_write_b16 v4, v89 offset:1540
	ds_write_b16 v4, v57 offset:1694
	ds_write_b16 v4, v90 offset:1848
	ds_write_b16 v4, v17 offset:2002
	ds_write_b16 v4, v42 offset:2156
	ds_write_b16 v14, v59
	ds_write_b16 v14, v60 offset:154
	ds_write_b16 v14, v91 offset:308
	;; [unrolled: 1-line block ×4, first 2 shown]
	ds_write_b16 v15, v61
	v_lshl_add_u32 v16, v31, 1, 0
	v_fmac_f16_e32 v96, 0x34f2, v40
	v_fmac_f16_e32 v99, 0x34f2, v40
	ds_write_b16 v15, v86 offset:154
	ds_write_b16 v15, v65 offset:308
	;; [unrolled: 1-line block ×9, first 2 shown]
	s_waitcnt lgkmcnt(0)
	s_barrier
	buffer_gl0_inv
	ds_read_u16 v37, v21 offset:1650
	ds_read_u16 v38, v21 offset:2420
	;; [unrolled: 1-line block ×6, first 2 shown]
	ds_read_u16 v31, v21
	ds_read_u16 v36, v21 offset:110
	ds_read_u16 v41, v21 offset:220
	;; [unrolled: 1-line block ×28, first 2 shown]
	v_add_f16_e32 v140, v124, v132
	v_fmac_f16_e32 v11, -0.5, v148
	v_sub_f16_e32 v124, v128, v124
	v_sub_f16_e32 v141, v130, v132
	v_add_f16_e32 v121, v121, v149
	v_fmac_f16_e32 v9, -0.5, v140
	v_fmamk_f16 v68, v145, 0x3b9c, v11
	v_fmac_f16_e32 v11, 0xbb9c, v145
	v_add_f16_e32 v104, v124, v141
	s_waitcnt lgkmcnt(0)
	v_fmamk_f16 v75, v137, 0x3b9c, v9
	v_fmac_f16_e32 v9, 0xbb9c, v137
	v_fmac_f16_e32 v68, 0xb8b4, v144
	;; [unrolled: 1-line block ×3, first 2 shown]
	s_barrier
	v_fmac_f16_e32 v75, 0xb8b4, v122
	v_fmac_f16_e32 v9, 0x38b4, v122
	v_fmac_f16_e32 v68, 0x34f2, v121
	v_fmac_f16_e32 v11, 0x34f2, v121
	buffer_gl0_inv
	v_fmac_f16_e32 v75, 0x34f2, v104
	v_fmac_f16_e32 v9, 0x34f2, v104
	ds_write_b16 v21, v70
	ds_write_b16 v21, v67 offset:154
	ds_write_b16 v21, v68 offset:308
	ds_write_b16 v21, v11 offset:462
	ds_write_b16 v21, v54 offset:616
	ds_write_b16 v10, v77
	ds_write_b16 v10, v74 offset:154
	ds_write_b16 v10, v75 offset:308
	ds_write_b16 v10, v9 offset:462
	ds_write_b16 v10, v71 offset:616
	;; [unrolled: 5-line block ×3, first 2 shown]
	ds_write_b16 v4, v82 offset:1540
	ds_write_b16 v4, v81 offset:1694
	;; [unrolled: 1-line block ×5, first 2 shown]
	ds_write_b16 v14, v84
	ds_write_b16 v14, v85 offset:154
	ds_write_b16 v14, v92 offset:308
	;; [unrolled: 1-line block ×4, first 2 shown]
	ds_write_b16 v15, v94
	ds_write_b16 v15, v79 offset:154
	ds_write_b16 v15, v87 offset:308
	;; [unrolled: 1-line block ×9, first 2 shown]
	s_waitcnt lgkmcnt(0)
	s_barrier
	buffer_gl0_inv
	s_and_saveexec_b32 s0, vcc_lo
	s_cbranch_execz .LBB0_21
; %bb.20:
	v_lshlrev_b32_e32 v24, 2, v30
	v_lshlrev_b64 v[1:2], 2, v[24:25]
	v_lshlrev_b32_e32 v24, 2, v0
	v_add_co_u32 v1, vcc_lo, s8, v1
	v_add_co_ci_u32_e32 v2, vcc_lo, s9, v2, vcc_lo
	global_load_dwordx4 v[4:7], v[1:2], off offset:1512
	v_lshlrev_b64 v[0:1], 2, v[24:25]
	v_lshlrev_b32_e32 v24, 2, v29
	v_mul_hi_u32 v29, 0x551c979b, v29
	v_lshlrev_b64 v[8:9], 2, v[24:25]
	v_lshlrev_b32_e32 v24, 2, v13
	v_add_co_u32 v0, vcc_lo, s8, v0
	v_add_co_ci_u32_e32 v1, vcc_lo, s9, v1, vcc_lo
	v_lshlrev_b64 v[13:14], 2, v[24:25]
	v_add_co_u32 v8, vcc_lo, s8, v8
	global_load_dwordx4 v[0:3], v[0:1], off offset:1512
	v_add_co_ci_u32_e32 v9, vcc_lo, s9, v9, vcc_lo
	v_add_co_u32 v13, vcc_lo, s8, v13
	v_add_co_ci_u32_e32 v14, vcc_lo, s9, v14, vcc_lo
	global_load_dwordx4 v[8:11], v[8:9], off offset:1512
	v_lshlrev_b32_e32 v24, 2, v12
	v_lshrrev_b32_e32 v29, 7, v29
	global_load_dwordx4 v[16:19], v[13:14], off offset:1512
	v_lshlrev_b64 v[12:13], 2, v[24:25]
	v_lshlrev_b32_e32 v24, 2, v28
	v_add_co_u32 v12, vcc_lo, s8, v12
	v_add_co_ci_u32_e32 v13, vcc_lo, s9, v13, vcc_lo
	v_lshlrev_b64 v[73:74], 2, v[24:25]
	global_load_dwordx4 v[12:15], v[12:13], off offset:1512
	ds_read_u16 v77, v21 offset:1430
	ds_read_u16 v78, v21 offset:3740
	ds_read_u16 v79, v21 offset:3630
	ds_read_u16 v80, v21 offset:3520
	ds_read_u16 v81, v21 offset:3410
	ds_read_u16 v54, v21 offset:3300
	ds_read_u16 v67, v21 offset:3190
	ds_read_u16 v68, v21 offset:3080
	ds_read_u16 v82, v21 offset:2970
	ds_read_u16 v83, v21 offset:2860
	ds_read_u16 v84, v21 offset:2750
	ds_read_u16 v85, v21 offset:2640
	ds_read_u16 v86, v21 offset:2530
	ds_read_u16 v87, v21 offset:2420
	ds_read_u16 v88, v21 offset:2310
	ds_read_u16 v28, v21 offset:2200
	ds_read_u16 v89, v21 offset:2090
	ds_read_u16 v90, v21 offset:1980
	ds_read_u16 v91, v21 offset:1870
	ds_read_u16 v92, v21 offset:1760
	ds_read_u16 v93, v21 offset:1650
	ds_read_u16 v94, v21 offset:1540
	ds_read_u16 v24, v21 offset:1320
	ds_read_u16 v95, v21 offset:1210
	ds_read_u16 v96, v21 offset:1100
	ds_read_u16 v97, v21 offset:990
	ds_read_u16 v98, v21 offset:880
	ds_read_u16 v99, v21 offset:770
	global_load_dwordx4 v[69:72], v[26:27], off offset:1512
	v_add_co_u32 v26, vcc_lo, s8, v73
	v_add_co_ci_u32_e32 v27, vcc_lo, s9, v74, vcc_lo
	ds_read_u16 v124, v21 offset:440
	ds_read_u16 v130, v21 offset:330
	;; [unrolled: 1-line block ×3, first 2 shown]
	global_load_dwordx4 v[73:76], v[26:27], off offset:1512
	s_waitcnt vmcnt(6)
	v_lshrrev_b32_e32 v100, 16, v4
	v_lshrrev_b32_e32 v101, 16, v5
	;; [unrolled: 1-line block ×4, first 2 shown]
	s_waitcnt lgkmcnt(30)
	v_mul_f16_e32 v104, v4, v77
	s_waitcnt lgkmcnt(15)
	v_mul_f16_e32 v105, v5, v28
	v_mul_f16_e32 v106, v7, v78
	;; [unrolled: 1-line block ×4, first 2 shown]
	v_fmac_f16_e32 v104, v63, v100
	v_mul_f16_e32 v28, v100, v77
	v_mul_f16_e32 v77, v103, v78
	ds_read_u16 v100, v21 offset:660
	v_mul_f16_e32 v107, v6, v82
	v_fmac_f16_e32 v106, v66, v103
	v_fma_f16 v27, v65, v6, -v27
	v_fma_f16 v6, v63, v4, -v28
	;; [unrolled: 1-line block ×3, first 2 shown]
	ds_read_u16 v66, v21 offset:550
	v_fmac_f16_e32 v105, v64, v101
	v_fmac_f16_e32 v107, v65, v102
	s_waitcnt vmcnt(5)
	v_lshrrev_b32_e32 v78, 16, v0
	v_lshrrev_b32_e32 v82, 16, v1
	;; [unrolled: 1-line block ×4, first 2 shown]
	s_waitcnt lgkmcnt(10)
	v_mul_f16_e32 v103, v0, v24
	v_mul_f16_e32 v108, v1, v89
	;; [unrolled: 1-line block ×4, first 2 shown]
	v_sub_f16_e32 v111, v104, v105
	v_sub_f16_e32 v112, v106, v107
	v_fma_f16 v26, v64, v5, -v26
	v_add_f16_e32 v4, v105, v107
	v_sub_f16_e32 v64, v104, v106
	v_sub_f16_e32 v5, v105, v104
	;; [unrolled: 1-line block ×3, first 2 shown]
	v_add_f16_e32 v28, v104, v106
	s_waitcnt lgkmcnt(1)
	v_add_f16_e32 v77, v104, v100
	v_fmac_f16_e32 v103, v59, v78
	v_fmac_f16_e32 v108, v60, v82
	;; [unrolled: 1-line block ×4, first 2 shown]
	v_mul_f16_e32 v82, v82, v89
	v_mul_f16_e32 v83, v101, v83
	;; [unrolled: 1-line block ×4, first 2 shown]
	s_waitcnt vmcnt(4)
	v_lshrrev_b32_e32 v79, 16, v8
	v_lshrrev_b32_e32 v89, 16, v9
	;; [unrolled: 1-line block ×4, first 2 shown]
	v_mul_f16_e32 v104, v8, v95
	v_mul_f16_e32 v113, v9, v90
	v_mul_f16_e32 v114, v11, v80
	v_mul_f16_e32 v115, v10, v84
	v_sub_f16_e32 v65, v105, v107
	v_add_f16_e32 v111, v111, v112
	v_sub_f16_e32 v112, v26, v27
	v_sub_f16_e32 v116, v6, v63
	v_fma_f16 v4, -0.5, v4, v100
	v_sub_f16_e32 v117, v6, v26
	v_sub_f16_e32 v118, v63, v27
	v_add_f16_e32 v119, v26, v27
	v_add_f16_e32 v120, v5, v7
	v_fma_f16 v5, -0.5, v28, v100
	v_sub_f16_e32 v7, v26, v6
	v_sub_f16_e32 v28, v27, v63
	v_add_f16_e32 v100, v6, v63
	v_add_f16_e32 v77, v105, v77
	;; [unrolled: 1-line block ×3, first 2 shown]
	v_sub_f16_e32 v105, v103, v108
	v_sub_f16_e32 v121, v109, v110
	v_fma_f16 v60, v60, v1, -v82
	v_fma_f16 v61, v61, v2, -v83
	;; [unrolled: 1-line block ×4, first 2 shown]
	v_add_f16_e32 v62, v108, v110
	v_sub_f16_e32 v78, v103, v109
	v_sub_f16_e32 v83, v108, v103
	;; [unrolled: 1-line block ×3, first 2 shown]
	v_add_f16_e32 v123, v103, v109
	s_waitcnt lgkmcnt(0)
	v_add_f16_e32 v103, v103, v66
	v_fmac_f16_e32 v104, v53, v79
	v_fmac_f16_e32 v113, v55, v89
	;; [unrolled: 1-line block ×4, first 2 shown]
	v_mul_f16_e32 v89, v89, v90
	v_mul_f16_e32 v84, v101, v84
	;; [unrolled: 1-line block ×4, first 2 shown]
	s_waitcnt vmcnt(3)
	v_lshrrev_b32_e32 v90, 16, v16
	v_lshrrev_b32_e32 v102, 16, v19
	v_mul_f16_e32 v126, v16, v96
	v_sub_f16_e32 v82, v108, v110
	v_lshrrev_b32_e32 v95, 16, v17
	v_mul_f16_e32 v128, v19, v81
	v_add_f16_e32 v117, v117, v118
	v_fma_f16 v2, -0.5, v119, v58
	v_fmamk_f16 v1, v112, 0xbb9c, v5
	v_add_f16_e32 v118, v7, v28
	v_fma_f16 v3, -0.5, v100, v58
	v_fmac_f16_e32 v5, 0x3b9c, v112
	v_add_f16_e32 v28, v107, v77
	v_add_f16_e32 v26, v6, v26
	;; [unrolled: 1-line block ×3, first 2 shown]
	v_sub_f16_e32 v100, v24, v59
	v_fma_f16 v6, -0.5, v62, v66
	v_sub_f16_e32 v62, v24, v60
	v_add_f16_e32 v107, v60, v61
	v_add_f16_e32 v83, v83, v122
	v_fma_f16 v7, -0.5, v123, v66
	v_sub_f16_e32 v66, v60, v24
	v_add_f16_e32 v121, v24, v59
	v_add_f16_e32 v103, v108, v103
	;; [unrolled: 1-line block ×3, first 2 shown]
	v_sub_f16_e32 v108, v104, v113
	v_sub_f16_e32 v122, v114, v115
	v_fma_f16 v55, v55, v9, -v89
	v_fma_f16 v56, v56, v10, -v84
	;; [unrolled: 1-line block ×4, first 2 shown]
	v_fmac_f16_e32 v126, v49, v90
	v_mul_f16_e32 v90, v90, v96
	v_mul_f16_e32 v81, v102, v81
	v_lshrrev_b32_e32 v101, 16, v18
	v_mul_f16_e32 v125, v17, v91
	v_mul_f16_e32 v127, v18, v85
	v_fmamk_f16 v0, v116, 0x3b9c, v4
	v_fmac_f16_e32 v4, 0xbb9c, v116
	v_sub_f16_e32 v77, v60, v61
	v_sub_f16_e32 v105, v59, v61
	;; [unrolled: 1-line block ×4, first 2 shown]
	v_add_f16_e32 v129, v104, v114
	v_add_f16_e32 v104, v104, v124
	v_mul_f16_e32 v91, v95, v91
	v_fmac_f16_e32 v1, 0x38b4, v116
	v_fmac_f16_e32 v5, 0xb8b4, v116
	v_add_f16_e32 v10, v106, v28
	v_add_f16_e32 v106, v26, v27
	v_fmamk_f16 v11, v100, 0x3b9c, v6
	v_fma_f16 v27, -0.5, v107, v52
	v_fma_f16 v28, -0.5, v121, v52
	v_fmac_f16_e32 v6, 0xbb9c, v100
	v_add_f16_e32 v103, v110, v103
	v_add_f16_e32 v24, v24, v60
	v_add_f16_e32 v60, v108, v122
	v_sub_f16_e32 v107, v79, v57
	v_sub_f16_e32 v108, v79, v55
	;; [unrolled: 1-line block ×4, first 2 shown]
	v_add_f16_e32 v121, v79, v57
	v_add_f16_e32 v79, v47, v79
	v_fma_f16 v49, v49, v16, -v90
	v_fma_f16 v81, v48, v19, -v81
	v_sub_f16_e32 v119, v61, v59
	v_fmac_f16_e32 v125, v50, v95
	v_fmac_f16_e32 v127, v51, v101
	;; [unrolled: 1-line block ×3, first 2 shown]
	v_mul_f16_e32 v85, v101, v85
	v_fmac_f16_e32 v0, 0x38b4, v112
	v_fmac_f16_e32 v4, 0xb8b4, v112
	v_add_f16_e32 v62, v62, v105
	v_fmamk_f16 v26, v77, 0xbb9c, v7
	v_fmac_f16_e32 v7, 0x3b9c, v77
	v_sub_f16_e32 v105, v55, v56
	v_add_f16_e32 v112, v55, v56
	v_add_f16_e32 v104, v113, v104
	v_fma_f16 v50, v50, v17, -v91
	v_fmac_f16_e32 v11, 0x38b4, v77
	v_fmamk_f16 v17, v78, 0xbb9c, v27
	v_fmac_f16_e32 v6, 0xb8b4, v77
	v_fmac_f16_e32 v27, 0x3b9c, v78
	v_add_f16_e32 v24, v24, v61
	v_add_f16_e32 v61, v108, v110
	;; [unrolled: 1-line block ×5, first 2 shown]
	v_sub_f16_e32 v84, v113, v115
	v_sub_f16_e32 v113, v125, v126
	;; [unrolled: 1-line block ×3, first 2 shown]
	v_add_f16_e32 v90, v126, v128
	v_fma_f16 v51, v51, v18, -v85
	v_sub_f16_e32 v85, v125, v127
	v_fmac_f16_e32 v0, 0x34f2, v111
	v_add_f16_e32 v16, v63, v106
	v_fmac_f16_e32 v4, 0x34f2, v111
	v_fmac_f16_e32 v26, 0x38b4, v100
	v_fmamk_f16 v18, v82, 0x3b9c, v28
	v_fmac_f16_e32 v7, 0xb8b4, v100
	v_fmac_f16_e32 v28, 0xbb9c, v82
	v_fma_f16 v63, -0.5, v112, v47
	v_add_f16_e32 v77, v115, v104
	v_sub_f16_e32 v100, v49, v81
	v_sub_f16_e32 v104, v50, v49
	;; [unrolled: 1-line block ×3, first 2 shown]
	v_add_f16_e32 v49, v46, v49
	v_fmac_f16_e32 v11, 0x34f2, v58
	v_fmac_f16_e32 v17, 0xb8b4, v82
	;; [unrolled: 1-line block ×4, first 2 shown]
	v_add_f16_e32 v58, v59, v24
	v_add_f16_e32 v24, v55, v56
	v_fma_f16 v82, -0.5, v108, v46
	v_add_f16_e32 v66, v66, v119
	v_fma_f16 v52, -0.5, v53, v124
	v_sub_f16_e32 v119, v56, v57
	v_sub_f16_e32 v91, v126, v128
	v_add_f16_e32 v19, v109, v103
	v_add_f16_e32 v79, v113, v122
	v_fma_f16 v90, -0.5, v90, v130
	v_sub_f16_e32 v103, v50, v51
	v_sub_f16_e32 v106, v51, v81
	v_add_f16_e32 v113, v50, v51
	v_fmamk_f16 v59, v80, 0xbb9c, v63
	v_fmac_f16_e32 v63, 0x3b9c, v80
	v_add_f16_e32 v49, v50, v49
	v_add_f16_e32 v50, v57, v24
	v_fmamk_f16 v57, v85, 0x3b9c, v82
	v_fmac_f16_e32 v82, 0xbb9c, v85
	s_waitcnt vmcnt(2)
	v_lshrrev_b32_e32 v95, 16, v12
	v_lshrrev_b32_e32 v96, 16, v13
	;; [unrolled: 1-line block ×4, first 2 shown]
	v_mul_f16_e32 v131, v12, v97
	v_mul_f16_e32 v132, v13, v92
	;; [unrolled: 1-line block ×3, first 2 shown]
	v_fmamk_f16 v9, v65, 0x3b9c, v3
	v_fmac_f16_e32 v3, 0xbb9c, v65
	v_fma_f16 v53, -0.5, v129, v124
	v_fmamk_f16 v48, v107, 0x3b9c, v52
	v_fma_f16 v47, -0.5, v121, v47
	v_fmac_f16_e32 v52, 0xbb9c, v107
	v_sub_f16_e32 v112, v81, v51
	v_fmamk_f16 v55, v103, 0xbb9c, v90
	v_add_f16_e32 v56, v104, v106
	v_fmac_f16_e32 v90, 0x3b9c, v103
	v_fmac_f16_e32 v59, 0xb8b4, v84
	;; [unrolled: 1-line block ×3, first 2 shown]
	v_add_f16_e32 v49, v49, v51
	v_fmac_f16_e32 v57, 0xb8b4, v91
	v_fmac_f16_e32 v82, 0x38b4, v91
	v_mul_f16_e32 v51, v15, v54
	v_sub_f16_e32 v123, v115, v114
	v_fmamk_f16 v8, v64, 0xbb9c, v2
	v_fmac_f16_e32 v2, 0x3b9c, v64
	v_fmac_f16_e32 v131, v44, v95
	;; [unrolled: 1-line block ×4, first 2 shown]
	v_fmamk_f16 v64, v105, 0xbb9c, v53
	v_fmac_f16_e32 v53, 0x3b9c, v105
	v_fmac_f16_e32 v18, 0xb8b4, v78
	;; [unrolled: 1-line block ×4, first 2 shown]
	v_fmamk_f16 v78, v84, 0x3b9c, v47
	v_fmac_f16_e32 v47, 0xbb9c, v84
	v_fmac_f16_e32 v52, 0xb8b4, v105
	v_fma_f16 v46, -0.5, v113, v46
	v_fmac_f16_e32 v17, 0x34f2, v62
	v_fmac_f16_e32 v27, 0x34f2, v62
	;; [unrolled: 1-line block ×9, first 2 shown]
	v_mul_f16_e32 v56, v95, v97
	v_mul_f16_e32 v54, v102, v54
	v_fmac_f16_e32 v133, v42, v101
	v_mul_f16_e32 v61, v96, v92
	v_mul_f16_e32 v62, v101, v86
	v_fmac_f16_e32 v51, v43, v102
	v_add_f16_e32 v89, v89, v123
	v_fmac_f16_e32 v8, 0xb8b4, v65
	v_fmac_f16_e32 v2, 0x38b4, v65
	v_add_f16_e32 v65, v116, v119
	v_fmac_f16_e32 v64, 0x38b4, v107
	v_fmac_f16_e32 v53, 0xb8b4, v107
	;; [unrolled: 1-line block ×6, first 2 shown]
	v_fmamk_f16 v60, v91, 0x3b9c, v46
	v_fmac_f16_e32 v46, 0xbb9c, v91
	v_fmac_f16_e32 v55, 0x34f2, v79
	v_fmac_f16_e32 v90, 0x34f2, v79
	v_fma_f16 v12, v44, v12, -v56
	v_fma_f16 v15, v43, v15, -v54
	v_fma_f16 v13, v45, v13, -v61
	v_fma_f16 v14, v42, v14, -v62
	v_add_f16_e32 v79, v131, v51
	v_sub_f16_e32 v84, v132, v131
	v_sub_f16_e32 v86, v133, v51
	v_fmac_f16_e32 v18, 0x34f2, v66
	v_fmac_f16_e32 v28, 0x34f2, v66
	;; [unrolled: 1-line block ×8, first 2 shown]
	v_add_f16_e32 v43, v132, v133
	ds_read_u16 v44, v21 offset:110
	v_sub_f16_e32 v61, v13, v14
	v_sub_f16_e32 v65, v12, v13
	;; [unrolled: 1-line block ×3, first 2 shown]
	v_add_f16_e32 v85, v12, v15
	v_fma_f16 v79, -0.5, v79, v134
	v_add_f16_e32 v84, v84, v86
	v_sub_f16_e32 v86, v13, v12
	v_sub_f16_e32 v89, v14, v15
	;; [unrolled: 1-line block ×3, first 2 shown]
	v_fma_f16 v43, -0.5, v43, v134
	v_add_f16_e32 v65, v65, v66
	v_fma_f16 v66, -0.5, v85, v41
	v_fmamk_f16 v85, v61, 0xbb9c, v79
	v_add_f16_e32 v86, v86, v89
	v_fmac_f16_e32 v79, 0x3b9c, v61
	v_add_f16_e32 v89, v131, v134
	v_add_f16_e32 v49, v49, v81
	v_sub_f16_e32 v45, v131, v132
	v_sub_f16_e32 v54, v51, v133
	v_add_f16_e32 v56, v13, v14
	v_fmamk_f16 v62, v42, 0x3b9c, v43
	v_sub_f16_e32 v81, v132, v133
	v_fmac_f16_e32 v85, 0x38b4, v42
	v_fmac_f16_e32 v43, 0xbb9c, v42
	v_fmac_f16_e32 v79, 0xb8b4, v42
	v_add_f16_e32 v42, v132, v89
	v_add_f16_e32 v12, v41, v12
	v_add_f16_e32 v45, v45, v54
	v_fma_f16 v54, -0.5, v56, v41
	v_sub_f16_e32 v56, v131, v51
	v_fmac_f16_e32 v62, 0x38b4, v61
	v_fmamk_f16 v91, v81, 0x3b9c, v66
	v_fmac_f16_e32 v66, 0xbb9c, v81
	v_fmac_f16_e32 v43, 0xb8b4, v61
	v_add_f16_e32 v42, v133, v42
	v_add_f16_e32 v12, v12, v13
	v_fmamk_f16 v80, v56, 0xbb9c, v54
	v_fmac_f16_e32 v62, 0x34f2, v45
	v_fmac_f16_e32 v91, 0xb8b4, v56
	;; [unrolled: 1-line block ×5, first 2 shown]
	s_waitcnt vmcnt(0)
	v_lshrrev_b32_e32 v41, 16, v73
	v_lshrrev_b32_e32 v45, 16, v74
	v_mul_f16_e32 v56, v73, v98
	v_mul_f16_e32 v61, v74, v93
	v_add_f16_e32 v42, v51, v42
	v_add_f16_e32 v12, v12, v14
	v_lshrrev_b32_e32 v13, 16, v75
	v_lshrrev_b32_e32 v14, 16, v76
	v_mul_f16_e32 v51, v75, v87
	v_fmac_f16_e32 v80, 0xb8b4, v81
	v_fmac_f16_e32 v54, 0x38b4, v81
	;; [unrolled: 1-line block ×4, first 2 shown]
	v_mul_f16_e32 v81, v76, v67
	v_mul_f16_e32 v41, v41, v98
	;; [unrolled: 1-line block ×3, first 2 shown]
	v_fmac_f16_e32 v51, v38, v13
	v_mul_f16_e32 v45, v45, v93
	v_mul_f16_e32 v13, v13, v87
	v_fma_f16 v40, v40, v73, -v41
	v_fma_f16 v41, v39, v76, -v67
	v_fmac_f16_e32 v81, v39, v14
	v_fma_f16 v37, v37, v74, -v45
	v_fma_f16 v13, v38, v75, -v13
	v_fmac_f16_e32 v91, 0x34f2, v86
	v_fmac_f16_e32 v66, 0x34f2, v86
	v_add_f16_e32 v14, v61, v51
	v_add_f16_e32 v67, v15, v12
	;; [unrolled: 1-line block ×4, first 2 shown]
	v_sub_f16_e32 v74, v40, v37
	v_sub_f16_e32 v75, v41, v13
	;; [unrolled: 1-line block ×4, first 2 shown]
	v_add_f16_e32 v92, v40, v41
	s_waitcnt lgkmcnt(0)
	v_fma_f16 v39, -0.5, v14, v44
	v_fma_f16 v45, -0.5, v45, v36
	;; [unrolled: 1-line block ×3, first 2 shown]
	v_add_f16_e32 v74, v74, v75
	v_add_f16_e32 v75, v86, v87
	v_fma_f16 v86, -0.5, v92, v36
	v_add_f16_e32 v44, v56, v44
	v_add_f16_e32 v36, v36, v40
	v_sub_f16_e32 v38, v40, v41
	v_sub_f16_e32 v12, v37, v13
	;; [unrolled: 1-line block ×3, first 2 shown]
	v_add_f16_e32 v40, v61, v44
	v_add_f16_e32 v36, v36, v37
	v_fmac_f16_e32 v80, 0x34f2, v65
	v_fmac_f16_e32 v54, 0x34f2, v65
	v_sub_f16_e32 v65, v56, v61
	ds_read_u16 v21, v21
	v_sub_f16_e32 v14, v81, v51
	v_fmamk_f16 v73, v38, 0x3b9c, v39
	v_fmamk_f16 v89, v12, 0xbb9c, v76
	v_sub_f16_e32 v92, v13, v41
	v_fmac_f16_e32 v76, 0x3b9c, v12
	v_add_f16_e32 v37, v51, v40
	v_add_f16_e32 v13, v36, v13
	v_fmac_f16_e32 v39, 0xbb9c, v38
	v_add_f16_e32 v14, v65, v14
	v_sub_f16_e32 v65, v56, v81
	v_fmac_f16_e32 v73, 0x38b4, v12
	v_sub_f16_e32 v15, v61, v51
	v_fmac_f16_e32 v89, 0x38b4, v38
	v_fmac_f16_e32 v76, 0xb8b4, v38
	v_add_f16_e32 v36, v81, v37
	v_add_f16_e32 v37, v41, v13
	v_fmac_f16_e32 v39, 0xb8b4, v12
	v_lshrrev_b32_e32 v12, 16, v69
	v_mul_f16_e32 v13, v69, v99
	v_lshrrev_b32_e32 v38, 16, v70
	v_mul_f16_e32 v40, v70, v94
	v_lshrrev_b32_e32 v41, 16, v71
	v_lshrrev_b32_e32 v44, 16, v72
	v_mul_f16_e32 v51, v71, v88
	v_mul_f16_e32 v56, v72, v68
	v_fmac_f16_e32 v85, 0x34f2, v84
	v_fmac_f16_e32 v79, 0x34f2, v84
	v_fmamk_f16 v84, v65, 0xbb9c, v45
	v_fmac_f16_e32 v13, v33, v12
	v_fmac_f16_e32 v40, v32, v38
	v_mul_f16_e32 v12, v12, v99
	v_mul_f16_e32 v61, v44, v68
	v_fmac_f16_e32 v51, v34, v41
	v_mul_f16_e32 v38, v38, v94
	v_mul_f16_e32 v41, v41, v88
	v_fmac_f16_e32 v56, v35, v44
	v_fmac_f16_e32 v45, 0x3b9c, v65
	;; [unrolled: 1-line block ×3, first 2 shown]
	v_fma_f16 v12, v33, v69, -v12
	v_fma_f16 v33, v35, v72, -v61
	v_add_f16_e32 v61, v40, v51
	v_fma_f16 v32, v32, v70, -v38
	v_fma_f16 v34, v34, v71, -v41
	v_sub_f16_e32 v41, v13, v40
	v_sub_f16_e32 v44, v56, v51
	v_fmac_f16_e32 v45, 0x38b4, v15
	v_fmac_f16_e32 v73, 0x34f2, v14
	;; [unrolled: 1-line block ×3, first 2 shown]
	v_fmamk_f16 v93, v15, 0x3b9c, v86
	v_fmac_f16_e32 v86, 0xbb9c, v15
	v_sub_f16_e32 v35, v12, v33
	s_waitcnt lgkmcnt(0)
	v_fma_f16 v38, -0.5, v61, v21
	v_fmac_f16_e32 v39, 0x34f2, v14
	v_add_f16_e32 v14, v41, v44
	v_fmac_f16_e32 v45, 0x34f2, v74
	v_sub_f16_e32 v41, v13, v56
	v_add_f16_e32 v44, v13, v56
	v_sub_f16_e32 v68, v12, v32
	v_sub_f16_e32 v69, v33, v34
	;; [unrolled: 1-line block ×4, first 2 shown]
	v_add_f16_e32 v13, v13, v21
	v_add_f16_e32 v15, v32, v34
	v_fmac_f16_e32 v89, 0x34f2, v75
	v_fmac_f16_e32 v76, 0x34f2, v75
	v_add_f16_e32 v75, v12, v33
	v_fmac_f16_e32 v93, 0xb8b4, v65
	v_fmac_f16_e32 v86, 0x38b4, v65
	v_sub_f16_e32 v61, v32, v34
	v_fmamk_f16 v65, v35, 0x3b9c, v38
	v_add_f16_e32 v68, v68, v69
	v_add_f16_e32 v69, v72, v74
	v_sub_f16_e32 v74, v32, v12
	v_fmac_f16_e32 v38, 0xbb9c, v35
	v_add_f16_e32 v13, v40, v13
	v_add_f16_e32 v12, v31, v12
	v_fma_f16 v15, -0.5, v15, v31
	v_add_f16_e32 v87, v87, v92
	v_fma_f16 v44, -0.5, v44, v21
	v_sub_f16_e32 v71, v40, v51
	v_fma_f16 v72, -0.5, v75, v31
	v_fmac_f16_e32 v65, 0x38b4, v61
	v_fmac_f16_e32 v38, 0xb8b4, v61
	v_add_f16_e32 v13, v51, v13
	v_add_f16_e32 v12, v12, v32
	v_mov_b32_e32 v21, v25
	v_fmamk_f16 v70, v41, 0xbb9c, v15
	v_fmac_f16_e32 v15, 0x3b9c, v41
	v_fmac_f16_e32 v93, 0x34f2, v87
	v_fmac_f16_e32 v86, 0x34f2, v87
	v_fmamk_f16 v81, v61, 0xbb9c, v44
	v_fmac_f16_e32 v44, 0x3b9c, v61
	v_sub_f16_e32 v75, v34, v33
	v_fmamk_f16 v87, v71, 0x3b9c, v72
	v_fmac_f16_e32 v72, 0xbb9c, v71
	v_fmac_f16_e32 v65, 0x34f2, v14
	;; [unrolled: 1-line block ×3, first 2 shown]
	v_add_f16_e32 v14, v56, v13
	v_add_f16_e32 v31, v12, v34
	v_lshlrev_b64 v[12:13], 2, v[20:21]
	v_add_co_u32 v20, vcc_lo, s2, v22
	v_fmac_f16_e32 v15, 0x38b4, v71
	v_fmac_f16_e32 v44, 0xb8b4, v35
	v_add_f16_e32 v74, v74, v75
	v_fmac_f16_e32 v72, 0x38b4, v41
	v_add_co_ci_u32_e32 v21, vcc_lo, s3, v23, vcc_lo
	v_add_f16_e32 v22, v33, v31
	v_add_co_u32 v12, vcc_lo, v20, v12
	v_fmac_f16_e32 v15, 0x34f2, v68
	v_fmac_f16_e32 v81, 0x38b4, v35
	;; [unrolled: 1-line block ×5, first 2 shown]
	v_add_co_ci_u32_e32 v13, vcc_lo, v21, v13, vcc_lo
	v_pack_b32_f16 v20, v22, v14
	v_add_co_u32 v14, vcc_lo, 0x800, v12
	v_pack_b32_f16 v21, v15, v38
	v_fmac_f16_e32 v70, 0xb8b4, v71
	v_fmac_f16_e32 v81, 0x34f2, v69
	v_pack_b32_f16 v22, v72, v44
	v_add_co_ci_u32_e32 v15, vcc_lo, 0, v13, vcc_lo
	v_fmac_f16_e32 v87, 0x34f2, v74
	v_sub_f16_e32 v123, v126, v125
	v_add_f16_e32 v126, v126, v130
	global_store_dword v[12:13], v20, off
	global_store_dword v[12:13], v21, off offset:1540
	global_store_dword v[14:15], v22, off offset:1032
	v_add_co_u32 v20, vcc_lo, 0x1000, v12
	v_fmac_f16_e32 v70, 0x34f2, v68
	v_pack_b32_f16 v31, v87, v81
	v_add_co_ci_u32_e32 v21, vcc_lo, 0, v13, vcc_lo
	v_add_f16_e32 v115, v125, v126
	v_add_co_u32 v22, vcc_lo, 0x1800, v12
	v_pack_b32_f16 v32, v70, v65
	v_add_co_ci_u32_e32 v23, vcc_lo, 0, v13, vcc_lo
	global_store_dword v[20:21], v31, off offset:524
	v_pack_b32_f16 v31, v86, v76
	v_add_f16_e32 v129, v125, v127
	v_pack_b32_f16 v33, v37, v36
	v_pack_b32_f16 v34, v45, v39
	v_add_f16_e32 v105, v127, v115
	global_store_dword v[22:23], v32, off offset:16
	global_store_dword v[12:13], v33, off offset:220
	;; [unrolled: 1-line block ×3, first 2 shown]
	v_pack_b32_f16 v32, v93, v89
	global_store_dword v[14:15], v31, off offset:1252
	v_pack_b32_f16 v31, v84, v73
	v_fma_f16 v110, -0.5, v129, v130
	v_pack_b32_f16 v33, v67, v42
	v_pack_b32_f16 v34, v54, v43
	v_add_f16_e32 v24, v128, v105
	global_store_dword v[20:21], v32, off offset:744
	global_store_dword v[22:23], v31, off offset:236
	global_store_dword v[12:13], v33, off offset:440
	global_store_dword v[12:13], v34, off offset:1980
	v_pack_b32_f16 v31, v66, v79
	v_sub_f16_e32 v124, v128, v127
	v_fmac_f16_e32 v26, 0x34f2, v83
	v_fmac_f16_e32 v7, 0x34f2, v83
	v_fmamk_f16 v83, v100, 0xbb9c, v110
	v_pack_b32_f16 v32, v91, v85
	v_pack_b32_f16 v33, v80, v62
	;; [unrolled: 1-line block ×3, first 2 shown]
	v_fmac_f16_e32 v110, 0x3b9c, v100
	global_store_dword v[14:15], v31, off offset:1472
	global_store_dword v[20:21], v32, off offset:964
	;; [unrolled: 1-line block ×4, first 2 shown]
	v_mul_u32_u24_e32 v24, 0x604, v29
	v_add_f16_e32 v109, v123, v124
	v_add_f16_e32 v104, v111, v112
	v_fmac_f16_e32 v83, 0xb8b4, v103
	v_fmac_f16_e32 v110, 0x38b4, v103
	v_lshlrev_b64 v[31:32], 2, v[24:25]
	v_add_f16_e32 v77, v114, v77
	v_fmac_f16_e32 v60, 0x34f2, v104
	v_fmac_f16_e32 v83, 0x34f2, v109
	;; [unrolled: 1-line block ×4, first 2 shown]
	v_add_co_u32 v31, vcc_lo, v12, v31
	v_pack_b32_f16 v29, v60, v83
	v_pack_b32_f16 v33, v82, v90
	;; [unrolled: 1-line block ×3, first 2 shown]
	v_add_co_ci_u32_e32 v32, vcc_lo, v13, v32, vcc_lo
	v_pack_b32_f16 v24, v50, v77
	v_pack_b32_f16 v35, v46, v110
	v_mul_hi_u32 v39, 0x551c979b, v30
	global_store_dword v[14:15], v29, off offset:152
	global_store_dword v[14:15], v33, off offset:1692
	;; [unrolled: 1-line block ×4, first 2 shown]
	v_add_co_u32 v33, vcc_lo, 0x370, v31
	v_add_co_ci_u32_e32 v34, vcc_lo, 0, v32, vcc_lo
	global_store_dword v[31:32], v24, off offset:880
	v_pack_b32_f16 v24, v63, v52
	v_add_co_u32 v35, vcc_lo, 0x800, v31
	v_add_co_ci_u32_e32 v36, vcc_lo, 0, v32, vcc_lo
	global_store_dword v[33:34], v24, off offset:1540
	v_lshrrev_b32_e32 v24, 7, v39
	v_add_co_u32 v29, vcc_lo, 0x1000, v31
	v_pack_b32_f16 v27, v27, v6
	v_pack_b32_f16 v28, v28, v7
	v_mul_u32_u24_e32 v24, 0x604, v24
	v_add_co_ci_u32_e32 v30, vcc_lo, 0, v32, vcc_lo
	v_add_co_u32 v31, vcc_lo, 0x1800, v31
	v_lshlrev_b64 v[6:7], 2, v[24:25]
	v_add_co_ci_u32_e32 v32, vcc_lo, 0, v32, vcc_lo
	v_pack_b32_f16 v37, v47, v53
	v_pack_b32_f16 v19, v58, v19
	v_pack_b32_f16 v11, v17, v11
	v_add_co_u32 v6, vcc_lo, v12, v6
	v_pack_b32_f16 v38, v78, v64
	v_pack_b32_f16 v40, v59, v48
	v_pack_b32_f16 v18, v18, v26
	v_add_co_ci_u32_e32 v7, vcc_lo, v13, v7, vcc_lo
	v_fmac_f16_e32 v2, 0x34f2, v117
	v_fmac_f16_e32 v5, 0x34f2, v120
	;; [unrolled: 1-line block ×3, first 2 shown]
	global_store_dword v[35:36], v37, off offset:1912
	global_store_dword v[29:30], v38, off offset:1404
	;; [unrolled: 1-line block ×8, first 2 shown]
	v_add_co_u32 v11, vcc_lo, 0x528, v6
	v_fmac_f16_e32 v8, 0x34f2, v117
	v_fmac_f16_e32 v1, 0x34f2, v120
	;; [unrolled: 1-line block ×3, first 2 shown]
	v_add_co_ci_u32_e32 v12, vcc_lo, 0, v7, vcc_lo
	v_pack_b32_f16 v4, v2, v4
	v_add_co_u32 v2, vcc_lo, 0x1000, v6
	v_pack_b32_f16 v10, v16, v10
	v_pack_b32_f16 v5, v3, v5
	v_add_co_ci_u32_e32 v3, vcc_lo, 0, v7, vcc_lo
	v_pack_b32_f16 v8, v8, v0
	v_add_co_u32 v0, vcc_lo, 0x1800, v6
	v_pack_b32_f16 v9, v9, v1
	v_add_co_ci_u32_e32 v1, vcc_lo, 0, v7, vcc_lo
	global_store_dword v[6:7], v10, off offset:1320
	global_store_dword v[11:12], v4, off offset:1540
	;; [unrolled: 1-line block ×5, first 2 shown]
.LBB0_21:
	s_endpgm
	.section	.rodata,"a",@progbits
	.p2align	6, 0x0
	.amdhsa_kernel fft_rtc_fwd_len1925_factors_7_11_5_5_wgs_55_tpt_55_halfLds_half_ip_CI_unitstride_sbrr_dirReg
		.amdhsa_group_segment_fixed_size 0
		.amdhsa_private_segment_fixed_size 0
		.amdhsa_kernarg_size 88
		.amdhsa_user_sgpr_count 6
		.amdhsa_user_sgpr_private_segment_buffer 1
		.amdhsa_user_sgpr_dispatch_ptr 0
		.amdhsa_user_sgpr_queue_ptr 0
		.amdhsa_user_sgpr_kernarg_segment_ptr 1
		.amdhsa_user_sgpr_dispatch_id 0
		.amdhsa_user_sgpr_flat_scratch_init 0
		.amdhsa_user_sgpr_private_segment_size 0
		.amdhsa_wavefront_size32 1
		.amdhsa_uses_dynamic_stack 0
		.amdhsa_system_sgpr_private_segment_wavefront_offset 0
		.amdhsa_system_sgpr_workgroup_id_x 1
		.amdhsa_system_sgpr_workgroup_id_y 0
		.amdhsa_system_sgpr_workgroup_id_z 0
		.amdhsa_system_sgpr_workgroup_info 0
		.amdhsa_system_vgpr_workitem_id 0
		.amdhsa_next_free_vgpr 195
		.amdhsa_next_free_sgpr 21
		.amdhsa_reserve_vcc 1
		.amdhsa_reserve_flat_scratch 0
		.amdhsa_float_round_mode_32 0
		.amdhsa_float_round_mode_16_64 0
		.amdhsa_float_denorm_mode_32 3
		.amdhsa_float_denorm_mode_16_64 3
		.amdhsa_dx10_clamp 1
		.amdhsa_ieee_mode 1
		.amdhsa_fp16_overflow 0
		.amdhsa_workgroup_processor_mode 1
		.amdhsa_memory_ordered 1
		.amdhsa_forward_progress 0
		.amdhsa_shared_vgpr_count 0
		.amdhsa_exception_fp_ieee_invalid_op 0
		.amdhsa_exception_fp_denorm_src 0
		.amdhsa_exception_fp_ieee_div_zero 0
		.amdhsa_exception_fp_ieee_overflow 0
		.amdhsa_exception_fp_ieee_underflow 0
		.amdhsa_exception_fp_ieee_inexact 0
		.amdhsa_exception_int_div_zero 0
	.end_amdhsa_kernel
	.text
.Lfunc_end0:
	.size	fft_rtc_fwd_len1925_factors_7_11_5_5_wgs_55_tpt_55_halfLds_half_ip_CI_unitstride_sbrr_dirReg, .Lfunc_end0-fft_rtc_fwd_len1925_factors_7_11_5_5_wgs_55_tpt_55_halfLds_half_ip_CI_unitstride_sbrr_dirReg
                                        ; -- End function
	.section	.AMDGPU.csdata,"",@progbits
; Kernel info:
; codeLenInByte = 25632
; NumSgprs: 23
; NumVgprs: 195
; ScratchSize: 0
; MemoryBound: 0
; FloatMode: 240
; IeeeMode: 1
; LDSByteSize: 0 bytes/workgroup (compile time only)
; SGPRBlocks: 2
; VGPRBlocks: 24
; NumSGPRsForWavesPerEU: 23
; NumVGPRsForWavesPerEU: 195
; Occupancy: 4
; WaveLimiterHint : 1
; COMPUTE_PGM_RSRC2:SCRATCH_EN: 0
; COMPUTE_PGM_RSRC2:USER_SGPR: 6
; COMPUTE_PGM_RSRC2:TRAP_HANDLER: 0
; COMPUTE_PGM_RSRC2:TGID_X_EN: 1
; COMPUTE_PGM_RSRC2:TGID_Y_EN: 0
; COMPUTE_PGM_RSRC2:TGID_Z_EN: 0
; COMPUTE_PGM_RSRC2:TIDIG_COMP_CNT: 0
	.text
	.p2alignl 6, 3214868480
	.fill 48, 4, 3214868480
	.type	__hip_cuid_1411745dab83007d,@object ; @__hip_cuid_1411745dab83007d
	.section	.bss,"aw",@nobits
	.globl	__hip_cuid_1411745dab83007d
__hip_cuid_1411745dab83007d:
	.byte	0                               ; 0x0
	.size	__hip_cuid_1411745dab83007d, 1

	.ident	"AMD clang version 19.0.0git (https://github.com/RadeonOpenCompute/llvm-project roc-6.4.0 25133 c7fe45cf4b819c5991fe208aaa96edf142730f1d)"
	.section	".note.GNU-stack","",@progbits
	.addrsig
	.addrsig_sym __hip_cuid_1411745dab83007d
	.amdgpu_metadata
---
amdhsa.kernels:
  - .args:
      - .actual_access:  read_only
        .address_space:  global
        .offset:         0
        .size:           8
        .value_kind:     global_buffer
      - .offset:         8
        .size:           8
        .value_kind:     by_value
      - .actual_access:  read_only
        .address_space:  global
        .offset:         16
        .size:           8
        .value_kind:     global_buffer
      - .actual_access:  read_only
        .address_space:  global
        .offset:         24
        .size:           8
        .value_kind:     global_buffer
      - .offset:         32
        .size:           8
        .value_kind:     by_value
      - .actual_access:  read_only
        .address_space:  global
        .offset:         40
        .size:           8
        .value_kind:     global_buffer
      - .actual_access:  read_only
        .address_space:  global
        .offset:         48
        .size:           8
        .value_kind:     global_buffer
      - .offset:         56
        .size:           4
        .value_kind:     by_value
      - .actual_access:  read_only
        .address_space:  global
        .offset:         64
        .size:           8
        .value_kind:     global_buffer
      - .actual_access:  read_only
        .address_space:  global
        .offset:         72
        .size:           8
        .value_kind:     global_buffer
      - .address_space:  global
        .offset:         80
        .size:           8
        .value_kind:     global_buffer
    .group_segment_fixed_size: 0
    .kernarg_segment_align: 8
    .kernarg_segment_size: 88
    .language:       OpenCL C
    .language_version:
      - 2
      - 0
    .max_flat_workgroup_size: 55
    .name:           fft_rtc_fwd_len1925_factors_7_11_5_5_wgs_55_tpt_55_halfLds_half_ip_CI_unitstride_sbrr_dirReg
    .private_segment_fixed_size: 0
    .sgpr_count:     23
    .sgpr_spill_count: 0
    .symbol:         fft_rtc_fwd_len1925_factors_7_11_5_5_wgs_55_tpt_55_halfLds_half_ip_CI_unitstride_sbrr_dirReg.kd
    .uniform_work_group_size: 1
    .uses_dynamic_stack: false
    .vgpr_count:     195
    .vgpr_spill_count: 0
    .wavefront_size: 32
    .workgroup_processor_mode: 1
amdhsa.target:   amdgcn-amd-amdhsa--gfx1030
amdhsa.version:
  - 1
  - 2
...

	.end_amdgpu_metadata
